;; amdgpu-corpus repo=ROCm/rocFFT kind=compiled arch=gfx906 opt=O3
	.text
	.amdgcn_target "amdgcn-amd-amdhsa--gfx906"
	.amdhsa_code_object_version 6
	.protected	bluestein_single_fwd_len405_dim1_dp_op_CI_CI ; -- Begin function bluestein_single_fwd_len405_dim1_dp_op_CI_CI
	.globl	bluestein_single_fwd_len405_dim1_dp_op_CI_CI
	.p2align	8
	.type	bluestein_single_fwd_len405_dim1_dp_op_CI_CI,@function
bluestein_single_fwd_len405_dim1_dp_op_CI_CI: ; @bluestein_single_fwd_len405_dim1_dp_op_CI_CI
; %bb.0:
	s_load_dwordx4 s[12:15], s[4:5], 0x28
	v_mul_u32_u24_e32 v1, 0x97c, v0
	s_mov_b64 s[26:27], s[2:3]
	v_lshrrev_b32_e32 v3, 16, v1
	s_mov_b64 s[24:25], s[0:1]
	v_lshl_add_u32 v1, s6, 2, v3
	v_mov_b32_e32 v2, 0
	s_add_u32 s24, s24, s7
	s_waitcnt lgkmcnt(0)
	v_cmp_gt_u64_e32 vcc, s[12:13], v[1:2]
	s_addc_u32 s25, s25, 0
	s_and_saveexec_b64 s[0:1], vcc
	s_cbranch_execz .LBB0_2
; %bb.1:
	s_load_dwordx4 s[8:11], s[4:5], 0x0
	s_load_dwordx4 s[16:19], s[4:5], 0x18
	s_load_dwordx2 s[12:13], s[4:5], 0x38
	v_and_b32_e32 v2, 3, v3
	v_mul_u32_u24_e32 v7, 0x195, v2
	v_lshlrev_b32_e32 v24, 4, v7
	s_waitcnt lgkmcnt(0)
	s_load_dwordx4 s[0:3], s[18:19], 0x0
	s_mov_b32 s19, 0xbfee6f0e
                                        ; kill: killed $sgpr8_sgpr9
	s_waitcnt lgkmcnt(0)
	v_mad_u64_u32 v[8:9], s[4:5], s2, v1, 0
	v_mov_b32_e32 v2, v9
	v_mad_u64_u32 v[4:5], s[2:3], s3, v1, v[2:3]
	v_mov_b32_e32 v9, v4
	buffer_store_dword v8, off, s[24:27], 0 offset:48 ; 4-byte Folded Spill
	s_nop 0
	buffer_store_dword v9, off, s[24:27], 0 offset:52 ; 4-byte Folded Spill
	s_load_dwordx4 s[4:7], s[16:17], 0x0
	s_mov_b32 s16, 0x4755a5e
	s_mov_b32 s17, 0x3fe2cf23
	s_waitcnt lgkmcnt(0)
	v_mad_u64_u32 v[4:5], s[2:3], s6, v1, 0
	s_movk_i32 s6, 0x1000
	v_mov_b32_e32 v2, v5
	v_mad_u64_u32 v[1:2], s[2:3], s7, v1, v[2:3]
	v_mov_b32_e32 v5, v1
	v_mul_lo_u16_e32 v1, 27, v3
	v_sub_u16_e32 v54, v0, v1
	v_mad_u64_u32 v[0:1], s[2:3], s4, v54, 0
	v_mad_u64_u32 v[1:2], s[2:3], s5, v54, v[1:2]
	v_lshlrev_b64 v[2:3], 4, v[4:5]
	v_mov_b32_e32 v4, s15
	v_add_co_u32_e32 v2, vcc, s14, v2
	v_lshlrev_b64 v[0:1], 4, v[0:1]
	v_addc_co_u32_e32 v3, vcc, v4, v3, vcc
	v_add_co_u32_e32 v9, vcc, v2, v0
	v_lshlrev_b32_e32 v0, 4, v54
	global_load_dwordx4 v[11:14], v0, s[8:9]
	v_addc_co_u32_e32 v10, vcc, v3, v1, vcc
	global_load_dwordx4 v[1:4], v[9:10], off
	v_add_co_u32_e32 v15, vcc, s8, v0
	v_mov_b32_e32 v5, s9
	v_addc_co_u32_e32 v17, vcc, 0, v5, vcc
	buffer_store_dword v15, off, s[24:27], 0 offset:232 ; 4-byte Folded Spill
	buffer_store_dword v17, off, s[24:27], 0 offset:236 ; 4-byte Folded Spill
	s_movk_i32 s2, 0x51
	v_add_co_u32_e32 v21, vcc, s2, v54
	s_mul_i32 s2, s5, 0x510
	s_mul_hi_u32 s3, s4, 0x510
	s_add_i32 s2, s3, s2
	s_mul_i32 s3, s4, 0x510
	v_add_u32_e32 v16, v24, v0
	v_add_co_u32_e32 v9, vcc, s3, v9
	s_mulk_i32 s5, 0xed70
	s_sub_i32 s5, s5, s4
                                        ; kill: killed $vgpr0
	s_mov_b32 s15, 0xbfe2cf23
	s_mov_b32 s14, s16
	s_waitcnt vmcnt(3)
	buffer_store_dword v11, off, s[24:27], 0 offset:168 ; 4-byte Folded Spill
	s_nop 0
	buffer_store_dword v12, off, s[24:27], 0 offset:172 ; 4-byte Folded Spill
	buffer_store_dword v13, off, s[24:27], 0 offset:176 ; 4-byte Folded Spill
	;; [unrolled: 1-line block ×3, first 2 shown]
	s_waitcnt vmcnt(6)
	v_mul_f64 v[5:6], v[3:4], v[13:14]
	v_fma_f64 v[5:6], v[1:2], v[11:12], v[5:6]
	v_mul_f64 v[1:2], v[1:2], v[13:14]
	v_fma_f64 v[7:8], v[3:4], v[11:12], -v[1:2]
	v_mov_b32_e32 v1, s2
	v_addc_co_u32_e32 v10, vcc, v10, v1, vcc
	ds_write_b128 v16, v[5:8]
	global_load_dwordx4 v[1:4], v[9:10], off
	global_load_dwordx4 v[11:14], v0, s[8:9] offset:1296
	v_add_co_u32_e32 v9, vcc, s3, v9
	s_waitcnt vmcnt(0)
	buffer_store_dword v11, off, s[24:27], 0 offset:184 ; 4-byte Folded Spill
	s_nop 0
	buffer_store_dword v12, off, s[24:27], 0 offset:188 ; 4-byte Folded Spill
	buffer_store_dword v13, off, s[24:27], 0 offset:192 ; 4-byte Folded Spill
	buffer_store_dword v14, off, s[24:27], 0 offset:196 ; 4-byte Folded Spill
	v_mul_f64 v[5:6], v[3:4], v[13:14]
	v_fma_f64 v[5:6], v[1:2], v[11:12], v[5:6]
	v_mul_f64 v[1:2], v[1:2], v[13:14]
	v_fma_f64 v[7:8], v[3:4], v[11:12], -v[1:2]
	v_mov_b32_e32 v1, s2
	v_addc_co_u32_e32 v10, vcc, v10, v1, vcc
	ds_write_b128 v16, v[5:8] offset:1296
	global_load_dwordx4 v[1:4], v[9:10], off
	global_load_dwordx4 v[11:14], v0, s[8:9] offset:2592
	v_add_co_u32_e32 v9, vcc, s3, v9
	s_waitcnt vmcnt(0)
	buffer_store_dword v11, off, s[24:27], 0 offset:200 ; 4-byte Folded Spill
	s_nop 0
	buffer_store_dword v12, off, s[24:27], 0 offset:204 ; 4-byte Folded Spill
	buffer_store_dword v13, off, s[24:27], 0 offset:208 ; 4-byte Folded Spill
	;; [unrolled: 1-line block ×3, first 2 shown]
	v_mul_f64 v[5:6], v[3:4], v[13:14]
	v_fma_f64 v[5:6], v[1:2], v[11:12], v[5:6]
	v_mul_f64 v[1:2], v[1:2], v[13:14]
	v_fma_f64 v[7:8], v[3:4], v[11:12], -v[1:2]
	v_mov_b32_e32 v1, s2
	v_addc_co_u32_e32 v10, vcc, v10, v1, vcc
	ds_write_b128 v16, v[5:8] offset:2592
	global_load_dwordx4 v[1:4], v[9:10], off
	global_load_dwordx4 v[11:14], v0, s[8:9] offset:3888
	v_add_co_u32_e32 v9, vcc, s3, v9
	s_waitcnt vmcnt(0)
	buffer_store_dword v11, off, s[24:27], 0 offset:216 ; 4-byte Folded Spill
	s_nop 0
	buffer_store_dword v12, off, s[24:27], 0 offset:220 ; 4-byte Folded Spill
	buffer_store_dword v13, off, s[24:27], 0 offset:224 ; 4-byte Folded Spill
	;; [unrolled: 1-line block ×3, first 2 shown]
	v_mul_f64 v[5:6], v[3:4], v[13:14]
	v_fma_f64 v[5:6], v[1:2], v[11:12], v[5:6]
	v_mul_f64 v[1:2], v[1:2], v[13:14]
	v_fma_f64 v[7:8], v[3:4], v[11:12], -v[1:2]
	v_mov_b32_e32 v1, s2
	v_addc_co_u32_e32 v10, vcc, v10, v1, vcc
	v_add_co_u32_e32 v52, vcc, s6, v15
	v_addc_co_u32_e32 v53, vcc, 0, v17, vcc
	global_load_dwordx4 v[1:4], v[9:10], off
	global_load_dwordx4 v[56:59], v[52:53], off offset:1088
	ds_write_b128 v16, v[5:8] offset:3888
	v_add_co_u32_e32 v23, vcc, 27, v54
	v_addc_co_u32_e64 v26, s[6:7], 0, 0, vcc
	v_mov_b32_e32 v11, 0xffffed70
	v_mul_lo_u16_e32 v17, 5, v54
	s_waitcnt vmcnt(0)
	v_mul_f64 v[5:6], v[3:4], v[58:59]
	v_fma_f64 v[5:6], v[1:2], v[56:57], v[5:6]
	v_mul_f64 v[1:2], v[1:2], v[58:59]
	v_fma_f64 v[7:8], v[3:4], v[56:57], -v[1:2]
	v_mov_b32_e32 v1, 0xffffed70
	v_mad_u64_u32 v[9:10], s[6:7], s4, v1, v[9:10]
	s_movk_i32 s6, 0x6c
	v_add_co_u32_e32 v22, vcc, s6, v54
	v_add_u32_e32 v10, s5, v10
	ds_write_b128 v16, v[5:8] offset:5184
	global_load_dwordx4 v[1:4], v[9:10], off
	global_load_dwordx4 v[12:15], v0, s[8:9] offset:432
	v_add_co_u32_e32 v9, vcc, s3, v9
	s_waitcnt vmcnt(0)
	buffer_store_dword v12, off, s[24:27], 0 offset:88 ; 4-byte Folded Spill
	s_nop 0
	buffer_store_dword v13, off, s[24:27], 0 offset:92 ; 4-byte Folded Spill
	buffer_store_dword v14, off, s[24:27], 0 offset:96 ; 4-byte Folded Spill
	buffer_store_dword v15, off, s[24:27], 0 offset:100 ; 4-byte Folded Spill
	v_mul_f64 v[5:6], v[3:4], v[14:15]
	v_fma_f64 v[5:6], v[1:2], v[12:13], v[5:6]
	v_mul_f64 v[1:2], v[1:2], v[14:15]
	v_fma_f64 v[7:8], v[3:4], v[12:13], -v[1:2]
	v_mov_b32_e32 v1, s2
	v_addc_co_u32_e32 v10, vcc, v10, v1, vcc
	ds_write_b128 v16, v[5:8] offset:432
	global_load_dwordx4 v[1:4], v[9:10], off
	global_load_dwordx4 v[12:15], v0, s[8:9] offset:1728
	v_add_co_u32_e32 v9, vcc, s3, v9
	s_waitcnt vmcnt(0)
	buffer_store_dword v12, off, s[24:27], 0 offset:104 ; 4-byte Folded Spill
	s_nop 0
	buffer_store_dword v13, off, s[24:27], 0 offset:108 ; 4-byte Folded Spill
	buffer_store_dword v14, off, s[24:27], 0 offset:112 ; 4-byte Folded Spill
	buffer_store_dword v15, off, s[24:27], 0 offset:116 ; 4-byte Folded Spill
	v_mul_f64 v[5:6], v[3:4], v[14:15]
	v_fma_f64 v[5:6], v[1:2], v[12:13], v[5:6]
	v_mul_f64 v[1:2], v[1:2], v[14:15]
	v_fma_f64 v[7:8], v[3:4], v[12:13], -v[1:2]
	v_mov_b32_e32 v1, s2
	v_addc_co_u32_e32 v10, vcc, v10, v1, vcc
	;; [unrolled: 16-line block ×3, first 2 shown]
	ds_write_b128 v16, v[5:8] offset:3024
	global_load_dwordx4 v[1:4], v[9:10], off
	global_load_dwordx4 v[12:15], v[52:53], off offset:224
	v_add_co_u32_e32 v9, vcc, s3, v9
	s_waitcnt vmcnt(0)
	buffer_store_dword v12, off, s[24:27], 0 offset:136 ; 4-byte Folded Spill
	s_nop 0
	buffer_store_dword v13, off, s[24:27], 0 offset:140 ; 4-byte Folded Spill
	buffer_store_dword v14, off, s[24:27], 0 offset:144 ; 4-byte Folded Spill
	;; [unrolled: 1-line block ×3, first 2 shown]
	v_mul_f64 v[5:6], v[3:4], v[14:15]
	v_fma_f64 v[5:6], v[1:2], v[12:13], v[5:6]
	v_mul_f64 v[1:2], v[1:2], v[14:15]
	v_fma_f64 v[7:8], v[3:4], v[12:13], -v[1:2]
	v_mov_b32_e32 v1, s2
	v_addc_co_u32_e32 v10, vcc, v10, v1, vcc
	v_add_co_u32_e32 v25, vcc, 54, v54
	ds_write_b128 v16, v[5:8] offset:4320
	global_load_dwordx4 v[1:4], v[9:10], off
	global_load_dwordx4 v[12:15], v[52:53], off offset:1520
	v_mad_u64_u32 v[9:10], s[6:7], s4, v11, v[9:10]
	s_mov_b32 s6, 0x134454ff
	s_mov_b32 s7, 0x3fee6f0e
	v_add_u32_e32 v10, s5, v10
	s_mov_b32 s18, s6
	s_mov_b32 s4, 0xe8584caa
	;; [unrolled: 1-line block ×3, first 2 shown]
	s_waitcnt vmcnt(0)
	buffer_store_dword v12, off, s[24:27], 0 offset:152 ; 4-byte Folded Spill
	s_nop 0
	buffer_store_dword v13, off, s[24:27], 0 offset:156 ; 4-byte Folded Spill
	buffer_store_dword v14, off, s[24:27], 0 offset:160 ; 4-byte Folded Spill
	;; [unrolled: 1-line block ×3, first 2 shown]
	v_mul_f64 v[5:6], v[3:4], v[14:15]
	v_fma_f64 v[5:6], v[1:2], v[12:13], v[5:6]
	v_mul_f64 v[1:2], v[1:2], v[14:15]
	v_fma_f64 v[7:8], v[3:4], v[12:13], -v[1:2]
	ds_write_b128 v16, v[5:8] offset:5616
	global_load_dwordx4 v[1:4], v[9:10], off
	global_load_dwordx4 v[11:14], v0, s[8:9] offset:864
	v_add_co_u32_e32 v9, vcc, s3, v9
	s_waitcnt vmcnt(0)
	buffer_store_dword v11, off, s[24:27], 0 offset:56 ; 4-byte Folded Spill
	s_nop 0
	buffer_store_dword v12, off, s[24:27], 0 offset:60 ; 4-byte Folded Spill
	buffer_store_dword v13, off, s[24:27], 0 offset:64 ; 4-byte Folded Spill
	;; [unrolled: 1-line block ×3, first 2 shown]
	v_mul_f64 v[5:6], v[3:4], v[13:14]
	v_fma_f64 v[5:6], v[1:2], v[11:12], v[5:6]
	v_mul_f64 v[1:2], v[1:2], v[13:14]
	v_fma_f64 v[7:8], v[3:4], v[11:12], -v[1:2]
	v_mov_b32_e32 v1, s2
	v_addc_co_u32_e32 v10, vcc, v10, v1, vcc
	ds_write_b128 v16, v[5:8] offset:864
	global_load_dwordx4 v[1:4], v[9:10], off
	global_load_dwordx4 v[11:14], v0, s[8:9] offset:2160
	v_add_co_u32_e32 v9, vcc, s3, v9
	s_waitcnt vmcnt(0)
	buffer_store_dword v11, off, s[24:27], 0 offset:72 ; 4-byte Folded Spill
	s_nop 0
	buffer_store_dword v12, off, s[24:27], 0 offset:76 ; 4-byte Folded Spill
	buffer_store_dword v13, off, s[24:27], 0 offset:80 ; 4-byte Folded Spill
	;; [unrolled: 1-line block ×3, first 2 shown]
	v_mul_f64 v[5:6], v[3:4], v[13:14]
	v_fma_f64 v[5:6], v[1:2], v[11:12], v[5:6]
	v_mul_f64 v[1:2], v[1:2], v[13:14]
	v_fma_f64 v[7:8], v[3:4], v[11:12], -v[1:2]
	v_mov_b32_e32 v1, s2
	v_addc_co_u32_e32 v10, vcc, v10, v1, vcc
	ds_write_b128 v16, v[5:8] offset:2160
	global_load_dwordx4 v[1:4], v[9:10], off
	global_load_dwordx4 v[11:14], v0, s[8:9] offset:3456
	s_mov_b32 s8, 0x372fe950
	s_mov_b32 s9, 0x3fd3c6ef
	s_waitcnt vmcnt(0)
	buffer_store_dword v11, off, s[24:27], 0 offset:16 ; 4-byte Folded Spill
	s_nop 0
	buffer_store_dword v12, off, s[24:27], 0 offset:20 ; 4-byte Folded Spill
	buffer_store_dword v13, off, s[24:27], 0 offset:24 ; 4-byte Folded Spill
	;; [unrolled: 1-line block ×3, first 2 shown]
	v_mul_f64 v[5:6], v[3:4], v[13:14]
	v_fma_f64 v[5:6], v[1:2], v[11:12], v[5:6]
	v_mul_f64 v[0:1], v[1:2], v[13:14]
	v_fma_f64 v[7:8], v[3:4], v[11:12], -v[0:1]
	v_mov_b32_e32 v0, s2
	ds_write_b128 v16, v[5:8] offset:3456
	v_add_co_u32_e32 v8, vcc, s3, v9
	v_addc_co_u32_e32 v9, vcc, v10, v0, vcc
	global_load_dwordx4 v[0:3], v[8:9], off
	global_load_dwordx4 v[10:13], v[52:53], off offset:656
	s_waitcnt vmcnt(0)
	buffer_store_dword v10, off, s[24:27], 0 ; 4-byte Folded Spill
	s_nop 0
	buffer_store_dword v11, off, s[24:27], 0 offset:4 ; 4-byte Folded Spill
	buffer_store_dword v12, off, s[24:27], 0 offset:8 ; 4-byte Folded Spill
	;; [unrolled: 1-line block ×3, first 2 shown]
	v_mul_f64 v[4:5], v[2:3], v[12:13]
	v_fma_f64 v[4:5], v[0:1], v[10:11], v[4:5]
	v_mul_f64 v[0:1], v[0:1], v[12:13]
	v_fma_f64 v[6:7], v[2:3], v[10:11], -v[0:1]
	v_mov_b32_e32 v0, s2
	s_movk_i32 s2, 0xcd
	ds_write_b128 v16, v[4:7] offset:4752
	v_add_co_u32_e32 v4, vcc, s3, v8
	v_addc_co_u32_e32 v5, vcc, v9, v0, vcc
	global_load_dwordx4 v[0:3], v[4:5], off
	global_load_dwordx4 v[6:9], v[52:53], off offset:1952
                                        ; kill: killed $vgpr4 killed $vgpr5
	s_mov_b32 s3, 0xbfebb67a
	s_waitcnt vmcnt(0)
	v_mul_f64 v[4:5], v[2:3], v[8:9]
	v_fma_f64 v[4:5], v[0:1], v[6:7], v[4:5]
	v_mul_f64 v[0:1], v[0:1], v[8:9]
	buffer_store_dword v6, off, s[24:27], 0 offset:32 ; 4-byte Folded Spill
	s_nop 0
	buffer_store_dword v7, off, s[24:27], 0 offset:36 ; 4-byte Folded Spill
	buffer_store_dword v8, off, s[24:27], 0 offset:40 ; 4-byte Folded Spill
	;; [unrolled: 1-line block ×3, first 2 shown]
	v_fma_f64 v[6:7], v[2:3], v[6:7], -v[0:1]
	ds_write_b128 v16, v[4:7] offset:6048
	s_waitcnt vmcnt(0) lgkmcnt(0)
	s_barrier
	ds_read_b128 v[4:7], v16
	ds_read_b128 v[8:11], v16 offset:1296
	ds_read_b128 v[12:15], v16 offset:2592
	;; [unrolled: 1-line block ×14, first 2 shown]
	s_waitcnt lgkmcnt(13)
	v_add_f64 v[35:36], v[4:5], v[8:9]
	s_waitcnt lgkmcnt(10)
	v_add_f64 v[37:38], v[10:11], -v[33:34]
	v_add_f64 v[41:42], v[14:15], -v[29:30]
	;; [unrolled: 1-line block ×4, first 2 shown]
	s_waitcnt lgkmcnt(0)
	v_add_f64 v[48:49], v[74:75], -v[70:71]
	v_add_f64 v[50:51], v[70:71], -v[74:75]
	v_add_f64 v[35:36], v[35:36], v[12:13]
	s_barrier
	v_add_f64 v[43:44], v[43:44], v[46:47]
	v_add_f64 v[46:47], v[68:69], -v[72:73]
	v_add_f64 v[35:36], v[35:36], v[27:28]
	v_add_f64 v[80:81], v[35:36], v[31:32]
	;; [unrolled: 1-line block ×3, first 2 shown]
	v_fma_f64 v[35:36], v[35:36], -0.5, v[4:5]
	v_fma_f64 v[39:40], v[37:38], s[6:7], v[35:36]
	v_fma_f64 v[35:36], v[37:38], s[18:19], v[35:36]
	v_fma_f64 v[39:40], v[41:42], s[16:17], v[39:40]
	v_fma_f64 v[35:36], v[41:42], s[14:15], v[35:36]
	v_fma_f64 v[88:89], v[43:44], s[8:9], v[39:40]
	v_fma_f64 v[84:85], v[43:44], s[8:9], v[35:36]
	v_add_f64 v[35:36], v[8:9], v[31:32]
	v_add_f64 v[39:40], v[12:13], -v[8:9]
	v_add_f64 v[43:44], v[27:28], -v[31:32]
	;; [unrolled: 1-line block ×4, first 2 shown]
	v_fma_f64 v[4:5], v[35:36], -0.5, v[4:5]
	v_add_f64 v[39:40], v[39:40], v[43:44]
	v_add_f64 v[43:44], v[72:73], -v[68:69]
	v_fma_f64 v[35:36], v[41:42], s[18:19], v[4:5]
	v_fma_f64 v[4:5], v[41:42], s[6:7], v[4:5]
	v_add_f64 v[41:42], v[60:61], -v[64:65]
	v_fma_f64 v[35:36], v[37:38], s[16:17], v[35:36]
	v_fma_f64 v[4:5], v[37:38], s[14:15], v[4:5]
	v_add_f64 v[37:38], v[106:107], -v[114:115]
	v_add_f64 v[41:42], v[41:42], v[43:44]
	v_add_f64 v[43:44], v[64:65], -v[60:61]
	v_fma_f64 v[96:97], v[39:40], s[8:9], v[35:36]
	v_fma_f64 v[92:93], v[39:40], s[8:9], v[4:5]
	v_add_f64 v[4:5], v[6:7], v[10:11]
	v_add_f64 v[35:36], v[33:34], -v[29:30]
	v_add_f64 v[39:40], v[66:67], -v[70:71]
	v_add_f64 v[43:44], v[43:44], v[46:47]
	v_add_f64 v[46:47], v[62:63], -v[66:67]
	v_add_f64 v[4:5], v[4:5], v[14:15]
	v_add_f64 v[46:47], v[46:47], v[48:49]
	v_add_f64 v[48:49], v[66:67], -v[62:63]
	v_add_f64 v[4:5], v[4:5], v[29:30]
	v_add_f64 v[48:49], v[48:49], v[50:51]
	;; [unrolled: 1-line block ×4, first 2 shown]
	v_fma_f64 v[4:5], v[4:5], -0.5, v[6:7]
	v_fma_f64 v[31:32], v[8:9], s[18:19], v[4:5]
	v_fma_f64 v[4:5], v[8:9], s[6:7], v[4:5]
	;; [unrolled: 1-line block ×3, first 2 shown]
	v_add_f64 v[31:32], v[10:11], -v[14:15]
	v_fma_f64 v[4:5], v[12:13], s[16:17], v[4:5]
	v_add_f64 v[31:32], v[31:32], v[35:36]
	v_add_f64 v[35:36], v[114:115], -v[106:107]
	v_fma_f64 v[86:87], v[31:32], s[8:9], v[4:5]
	v_add_f64 v[4:5], v[10:11], v[33:34]
	v_add_f64 v[10:11], v[14:15], -v[10:11]
	v_add_f64 v[14:15], v[29:30], -v[33:34]
	v_fma_f64 v[90:91], v[31:32], s[8:9], v[27:28]
	v_add_f64 v[27:28], v[112:113], -v[104:105]
	v_add_f64 v[29:30], v[100:101], -v[0:1]
	;; [unrolled: 1-line block ×4, first 2 shown]
	v_fma_f64 v[4:5], v[4:5], -0.5, v[6:7]
	v_add_f64 v[10:11], v[10:11], v[14:15]
	v_add_f64 v[14:15], v[102:103], -v[106:107]
	v_add_f64 v[29:30], v[29:30], v[31:32]
	v_fma_f64 v[6:7], v[12:13], s[6:7], v[4:5]
	v_fma_f64 v[4:5], v[12:13], s[18:19], v[4:5]
	v_add_f64 v[12:13], v[0:1], -v[100:101]
	v_fma_f64 v[6:7], v[8:9], s[14:15], v[6:7]
	v_fma_f64 v[4:5], v[8:9], s[16:17], v[4:5]
	v_add_f64 v[27:28], v[12:13], v[27:28]
	v_fma_f64 v[98:99], v[10:11], s[8:9], v[6:7]
	v_add_f64 v[6:7], v[100:101], v[104:105]
	v_fma_f64 v[94:95], v[10:11], s[8:9], v[4:5]
	v_add_f64 v[10:11], v[2:3], -v[114:115]
	v_add_f64 v[4:5], v[108:109], v[0:1]
	v_fma_f64 v[6:7], v[6:7], -0.5, v[108:109]
	v_add_f64 v[4:5], v[4:5], v[100:101]
	v_fma_f64 v[8:9], v[10:11], s[6:7], v[6:7]
	v_fma_f64 v[6:7], v[10:11], s[18:19], v[6:7]
	v_add_f64 v[4:5], v[4:5], v[104:105]
	v_fma_f64 v[8:9], v[14:15], s[16:17], v[8:9]
	v_fma_f64 v[6:7], v[14:15], s[14:15], v[6:7]
	v_add_f64 v[4:5], v[4:5], v[112:113]
	v_fma_f64 v[12:13], v[27:28], s[8:9], v[8:9]
	v_fma_f64 v[8:9], v[27:28], s[8:9], v[6:7]
	v_add_f64 v[6:7], v[0:1], v[112:113]
	v_add_f64 v[0:1], v[0:1], -v[112:113]
	v_fma_f64 v[6:7], v[6:7], -0.5, v[108:109]
	v_fma_f64 v[27:28], v[14:15], s[18:19], v[6:7]
	v_fma_f64 v[6:7], v[14:15], s[6:7], v[6:7]
	;; [unrolled: 1-line block ×4, first 2 shown]
	v_add_f64 v[10:11], v[102:103], v[106:107]
	v_fma_f64 v[27:28], v[29:30], s[8:9], v[27:28]
	v_fma_f64 v[31:32], v[29:30], s[8:9], v[6:7]
	v_fma_f64 v[10:11], v[10:11], -0.5, v[110:111]
	v_add_f64 v[29:30], v[2:3], -v[102:103]
	v_add_f64 v[6:7], v[110:111], v[2:3]
	v_fma_f64 v[14:15], v[0:1], s[18:19], v[10:11]
	v_fma_f64 v[10:11], v[0:1], s[6:7], v[10:11]
	v_add_f64 v[29:30], v[29:30], v[35:36]
	v_add_f64 v[6:7], v[6:7], v[102:103]
	v_fma_f64 v[14:15], v[33:34], s[14:15], v[14:15]
	v_fma_f64 v[10:11], v[33:34], s[16:17], v[10:11]
	v_add_f64 v[6:7], v[6:7], v[106:107]
	v_fma_f64 v[14:15], v[29:30], s[8:9], v[14:15]
	v_fma_f64 v[10:11], v[29:30], s[8:9], v[10:11]
	v_add_f64 v[29:30], v[2:3], v[114:115]
	v_add_f64 v[2:3], v[102:103], -v[2:3]
	v_add_f64 v[6:7], v[6:7], v[114:115]
	v_fma_f64 v[35:36], v[29:30], -0.5, v[110:111]
	v_add_f64 v[2:3], v[2:3], v[37:38]
	v_add_f64 v[37:38], v[62:63], -v[74:75]
	v_fma_f64 v[29:30], v[33:34], s[6:7], v[35:36]
	v_fma_f64 v[33:34], v[33:34], s[18:19], v[35:36]
	;; [unrolled: 1-line block ×6, first 2 shown]
	v_add_f64 v[2:3], v[64:65], v[68:69]
	v_add_f64 v[0:1], v[76:77], v[60:61]
	v_fma_f64 v[2:3], v[2:3], -0.5, v[76:77]
	v_add_f64 v[0:1], v[0:1], v[64:65]
	v_fma_f64 v[35:36], v[37:38], s[6:7], v[2:3]
	v_fma_f64 v[2:3], v[37:38], s[18:19], v[2:3]
	v_add_f64 v[0:1], v[0:1], v[68:69]
	v_fma_f64 v[35:36], v[39:40], s[16:17], v[35:36]
	v_fma_f64 v[2:3], v[39:40], s[14:15], v[2:3]
	;; [unrolled: 3-line block ×3, first 2 shown]
	v_add_f64 v[2:3], v[60:61], v[72:73]
	v_fma_f64 v[2:3], v[2:3], -0.5, v[76:77]
	v_fma_f64 v[41:42], v[39:40], s[18:19], v[2:3]
	v_fma_f64 v[2:3], v[39:40], s[6:7], v[2:3]
	;; [unrolled: 1-line block ×4, first 2 shown]
	v_add_f64 v[37:38], v[66:67], v[70:71]
	v_fma_f64 v[76:77], v[43:44], s[8:9], v[41:42]
	v_add_f64 v[41:42], v[60:61], -v[72:73]
	v_fma_f64 v[39:40], v[37:38], -0.5, v[78:79]
	v_fma_f64 v[104:105], v[43:44], s[8:9], v[2:3]
	v_add_f64 v[43:44], v[64:65], -v[68:69]
	v_add_f64 v[2:3], v[78:79], v[62:63]
	v_fma_f64 v[37:38], v[41:42], s[18:19], v[39:40]
	v_fma_f64 v[39:40], v[41:42], s[6:7], v[39:40]
	v_add_f64 v[2:3], v[2:3], v[66:67]
	v_fma_f64 v[37:38], v[43:44], s[14:15], v[37:38]
	v_fma_f64 v[39:40], v[43:44], s[16:17], v[39:40]
	;; [unrolled: 3-line block ×3, first 2 shown]
	v_add_f64 v[39:40], v[62:63], v[74:75]
	v_add_f64 v[2:3], v[2:3], v[74:75]
	v_fma_f64 v[39:40], v[39:40], -0.5, v[78:79]
	v_fma_f64 v[46:47], v[43:44], s[6:7], v[39:40]
	v_fma_f64 v[39:40], v[43:44], s[18:19], v[39:40]
	v_fma_f64 v[46:47], v[41:42], s[14:15], v[46:47]
	v_fma_f64 v[39:40], v[41:42], s[16:17], v[39:40]
	v_fma_f64 v[78:79], v[48:49], s[8:9], v[46:47]
	v_fma_f64 v[106:107], v[48:49], s[8:9], v[39:40]
	v_lshl_add_u32 v48, v17, 4, v24
	v_mul_u32_u24_e32 v17, 5, v23
	v_lshl_add_u32 v55, v17, 4, v24
	ds_write_b128 v48, v[80:83]
	ds_write_b128 v48, v[88:91] offset:16
	ds_write_b128 v48, v[96:99] offset:32
	;; [unrolled: 1-line block ×4, first 2 shown]
	ds_write_b128 v55, v[4:7]
	ds_write_b128 v55, v[12:15] offset:16
	ds_write_b128 v55, v[27:30] offset:32
	;; [unrolled: 1-line block ×4, first 2 shown]
	v_mul_u32_u24_e32 v4, 5, v25
	v_lshl_add_u32 v51, v4, 4, v24
	v_mul_lo_u16_sdwa v4, v54, s2 dst_sel:DWORD dst_unused:UNUSED_PAD src0_sel:BYTE_0 src1_sel:DWORD
	v_lshrrev_b16_e32 v4, 10, v4
	v_mul_lo_u16_e32 v5, 5, v4
	v_sub_u16_e32 v5, v54, v5
	v_lshlrev_b16_e32 v14, 1, v5
	v_and_b32_e32 v14, 0xfe, v14
	v_lshlrev_b32_e32 v14, 4, v14
	ds_write_b128 v51, v[0:3]
	ds_write_b128 v51, v[35:38] offset:16
	ds_write_b128 v51, v[76:79] offset:32
	;; [unrolled: 1-line block ×4, first 2 shown]
	s_waitcnt lgkmcnt(0)
	s_barrier
	ds_read_b128 v[112:115], v16
	ds_read_b128 v[6:9], v16 offset:2160
	ds_read_b128 v[10:13], v16 offset:4320
	;; [unrolled: 1-line block ×14, first 2 shown]
	global_load_dwordx4 v[60:63], v14, s[10:11] offset:16
	global_load_dwordx4 v[64:67], v14, s[10:11]
	v_mad_legacy_u16 v4, v4, 15, v5
	v_and_b32_e32 v4, 0xff, v4
	v_lshl_add_u32 v4, v4, 4, v24
	s_waitcnt vmcnt(0) lgkmcnt(13)
	v_mul_f64 v[14:15], v[8:9], v[66:67]
	v_fma_f64 v[39:40], v[6:7], v[64:65], -v[14:15]
	v_mul_f64 v[6:7], v[6:7], v[66:67]
	v_fma_f64 v[41:42], v[8:9], v[64:65], v[6:7]
	s_waitcnt lgkmcnt(12)
	v_mul_f64 v[6:7], v[12:13], v[62:63]
	v_fma_f64 v[43:44], v[10:11], v[60:61], -v[6:7]
	v_mul_f64 v[6:7], v[10:11], v[62:63]
	v_mov_b32_e32 v10, 5
	v_fma_f64 v[49:50], v[12:13], v[60:61], v[6:7]
	v_mul_lo_u16_sdwa v6, v23, s2 dst_sel:DWORD dst_unused:UNUSED_PAD src0_sel:BYTE_0 src1_sel:DWORD
	v_lshrrev_b16_e32 v6, 10, v6
	v_mul_lo_u16_e32 v7, 5, v6
	v_sub_u16_e32 v7, v23, v7
	v_lshlrev_b32_sdwa v8, v10, v7 dst_sel:DWORD dst_unused:UNUSED_PAD src0_sel:DWORD src1_sel:BYTE_0
	global_load_dwordx4 v[68:71], v8, s[10:11] offset:16
	global_load_dwordx4 v[72:75], v8, s[10:11]
	s_waitcnt vmcnt(0) lgkmcnt(10)
	v_mul_f64 v[8:9], v[29:30], v[74:75]
	v_fma_f64 v[124:125], v[27:28], v[72:73], -v[8:9]
	v_mul_f64 v[8:9], v[27:28], v[74:75]
	v_fma_f64 v[126:127], v[29:30], v[72:73], v[8:9]
	s_waitcnt lgkmcnt(9)
	v_mul_f64 v[8:9], v[33:34], v[70:71]
	v_add_f64 v[29:30], v[39:40], v[43:44]
	v_fma_f64 v[128:129], v[31:32], v[68:69], -v[8:9]
	v_mul_f64 v[8:9], v[31:32], v[70:71]
	v_fma_f64 v[29:30], v[29:30], -0.5, v[112:113]
	v_fma_f64 v[130:131], v[33:34], v[68:69], v[8:9]
	v_mul_lo_u16_sdwa v8, v25, s2 dst_sel:DWORD dst_unused:UNUSED_PAD src0_sel:BYTE_0 src1_sel:DWORD
	v_lshrrev_b16_e32 v8, 10, v8
	v_mul_lo_u16_e32 v9, 5, v8
	v_sub_u16_e32 v9, v25, v9
	v_lshlrev_b32_sdwa v11, v10, v9 dst_sel:DWORD dst_unused:UNUSED_PAD src0_sel:DWORD src1_sel:BYTE_0
	global_load_dwordx4 v[76:79], v11, s[10:11] offset:16
	global_load_dwordx4 v[80:83], v11, s[10:11]
	v_add_f64 v[33:34], v[41:42], -v[49:50]
	v_fma_f64 v[31:32], v[33:34], s[4:5], v[29:30]
	s_waitcnt vmcnt(0) lgkmcnt(7)
	v_mul_f64 v[11:12], v[37:38], v[82:83]
	v_fma_f64 v[132:133], v[35:36], v[80:81], -v[11:12]
	v_mul_f64 v[11:12], v[35:36], v[82:83]
	v_fma_f64 v[134:135], v[37:38], v[80:81], v[11:12]
	s_waitcnt lgkmcnt(6)
	v_mul_f64 v[11:12], v[86:87], v[78:79]
	v_fma_f64 v[136:137], v[84:85], v[76:77], -v[11:12]
	v_mul_f64 v[11:12], v[84:85], v[78:79]
	v_fma_f64 v[138:139], v[86:87], v[76:77], v[11:12]
	v_mul_lo_u16_sdwa v11, v21, s2 dst_sel:DWORD dst_unused:UNUSED_PAD src0_sel:BYTE_0 src1_sel:DWORD
	v_lshrrev_b16_e32 v11, 10, v11
	v_mul_lo_u16_e32 v12, 5, v11
	v_sub_u16_e32 v12, v21, v12
	v_lshlrev_b32_sdwa v13, v10, v12 dst_sel:DWORD dst_unused:UNUSED_PAD src0_sel:DWORD src1_sel:BYTE_0
	global_load_dwordx4 v[84:87], v13, s[10:11] offset:16
	global_load_dwordx4 v[88:91], v13, s[10:11]
	s_waitcnt vmcnt(0) lgkmcnt(4)
	v_mul_f64 v[13:14], v[94:95], v[90:91]
	v_fma_f64 v[140:141], v[92:93], v[88:89], -v[13:14]
	v_mul_f64 v[13:14], v[92:93], v[90:91]
	v_fma_f64 v[142:143], v[94:95], v[88:89], v[13:14]
	s_waitcnt lgkmcnt(3)
	v_mul_f64 v[13:14], v[98:99], v[86:87]
	v_fma_f64 v[144:145], v[96:97], v[84:85], -v[13:14]
	v_mul_f64 v[13:14], v[96:97], v[86:87]
	v_fma_f64 v[146:147], v[98:99], v[84:85], v[13:14]
	v_mul_lo_u16_sdwa v13, v22, s2 dst_sel:DWORD dst_unused:UNUSED_PAD src0_sel:BYTE_0 src1_sel:DWORD
	v_lshrrev_b16_e32 v13, 10, v13
	v_mul_lo_u16_e32 v14, 5, v13
	v_sub_u16_e32 v14, v22, v14
	v_lshlrev_b32_sdwa v15, v10, v14 dst_sel:DWORD dst_unused:UNUSED_PAD src0_sel:DWORD src1_sel:BYTE_0
	global_load_dwordx4 v[92:95], v15, s[10:11] offset:16
	global_load_dwordx4 v[96:99], v15, s[10:11]
	s_mov_b32 s2, s4
	v_fma_f64 v[35:36], v[33:34], s[2:3], v[29:30]
	v_add_f64 v[33:34], v[41:42], v[49:50]
	v_add_f64 v[29:30], v[114:115], v[41:42]
	v_add_f64 v[41:42], v[126:127], -v[130:131]
	s_waitcnt vmcnt(0) lgkmcnt(0)
	s_barrier
	buffer_store_dword v4, off, s[24:27], 0 offset:256 ; 4-byte Folded Spill
	v_fma_f64 v[37:38], v[33:34], -0.5, v[114:115]
	v_add_f64 v[29:30], v[29:30], v[49:50]
	v_mul_f64 v[27:28], v[118:119], v[98:99]
	v_fma_f64 v[148:149], v[116:117], v[96:97], -v[27:28]
	v_mul_f64 v[27:28], v[116:117], v[98:99]
	v_fma_f64 v[150:151], v[118:119], v[96:97], v[27:28]
	v_mul_f64 v[27:28], v[122:123], v[94:95]
	v_fma_f64 v[152:153], v[120:121], v[92:93], -v[27:28]
	v_mul_f64 v[27:28], v[120:121], v[94:95]
	v_fma_f64 v[154:155], v[122:123], v[92:93], v[27:28]
	v_add_f64 v[27:28], v[112:113], v[39:40]
	v_add_f64 v[39:40], v[39:40], -v[43:44]
	v_add_f64 v[27:28], v[27:28], v[43:44]
	v_fma_f64 v[33:34], v[39:40], s[2:3], v[37:38]
	v_fma_f64 v[37:38], v[39:40], s[4:5], v[37:38]
	v_add_f64 v[39:40], v[0:1], v[124:125]
	ds_write_b128 v4, v[27:30]
	ds_write_b128 v4, v[31:34] offset:80
	ds_write_b128 v4, v[35:38] offset:160
	v_mul_lo_u16_e32 v4, 15, v6
	v_add_u32_sdwa v4, v4, v7 dst_sel:DWORD dst_unused:UNUSED_PAD src0_sel:BYTE_0 src1_sel:BYTE_0
	v_add_f64 v[112:113], v[39:40], v[128:129]
	v_add_f64 v[39:40], v[124:125], v[128:129]
	v_lshl_add_u32 v4, v4, 4, v24
	buffer_store_dword v4, off, s[24:27], 0 offset:240 ; 4-byte Folded Spill
	v_fma_f64 v[39:40], v[39:40], -0.5, v[0:1]
	v_fma_f64 v[0:1], v[41:42], s[4:5], v[39:40]
	v_fma_f64 v[116:117], v[41:42], s[2:3], v[39:40]
	v_add_f64 v[39:40], v[2:3], v[126:127]
	v_add_f64 v[41:42], v[124:125], -v[128:129]
	v_add_f64 v[114:115], v[39:40], v[130:131]
	v_add_f64 v[39:40], v[126:127], v[130:131]
	v_fma_f64 v[39:40], v[39:40], -0.5, v[2:3]
	v_fma_f64 v[2:3], v[41:42], s[2:3], v[39:40]
	v_fma_f64 v[118:119], v[41:42], s[4:5], v[39:40]
	v_add_f64 v[39:40], v[108:109], v[132:133]
	v_add_f64 v[41:42], v[134:135], -v[138:139]
	ds_write_b128 v4, v[112:115]
	ds_write_b128 v4, v[0:3] offset:80
	ds_write_b128 v4, v[116:119] offset:160
	v_mul_u32_u24_e32 v0, 15, v8
	v_add_u32_sdwa v0, v0, v9 dst_sel:DWORD dst_unused:UNUSED_PAD src0_sel:DWORD src1_sel:BYTE_0
	v_add_f64 v[120:121], v[39:40], v[136:137]
	v_add_f64 v[39:40], v[132:133], v[136:137]
	v_lshl_add_u32 v0, v0, 4, v24
	v_add_co_u32_e32 v4, vcc, -15, v54
	buffer_store_dword v0, off, s[24:27], 0 offset:244 ; 4-byte Folded Spill
	v_addc_co_u32_e64 v5, s[20:21], 0, -1, vcc
	v_cmp_gt_u16_e32 vcc, 15, v54
	v_fma_f64 v[39:40], v[39:40], -0.5, v[108:109]
	v_cndmask_b32_e64 v5, v5, 0, vcc
	v_cndmask_b32_e32 v4, v4, v54, vcc
	s_movk_i32 s20, 0x89
	v_fma_f64 v[108:109], v[41:42], s[4:5], v[39:40]
	v_fma_f64 v[124:125], v[41:42], s[2:3], v[39:40]
	v_add_f64 v[39:40], v[110:111], v[134:135]
	v_add_f64 v[41:42], v[132:133], -v[136:137]
	v_add_f64 v[122:123], v[39:40], v[138:139]
	v_add_f64 v[39:40], v[134:135], v[138:139]
	v_fma_f64 v[39:40], v[39:40], -0.5, v[110:111]
	v_fma_f64 v[110:111], v[41:42], s[2:3], v[39:40]
	v_fma_f64 v[126:127], v[41:42], s[4:5], v[39:40]
	v_add_f64 v[39:40], v[104:105], v[140:141]
	v_add_f64 v[41:42], v[142:143], -v[146:147]
	ds_write_b128 v0, v[120:123]
	ds_write_b128 v0, v[108:111] offset:80
	ds_write_b128 v0, v[124:127] offset:160
	v_mul_u32_u24_e32 v0, 15, v11
	v_add_u32_sdwa v0, v0, v12 dst_sel:DWORD dst_unused:UNUSED_PAD src0_sel:DWORD src1_sel:BYTE_0
	v_add_f64 v[128:129], v[39:40], v[144:145]
	v_add_f64 v[39:40], v[140:141], v[144:145]
	v_lshl_add_u32 v0, v0, 4, v24
	buffer_store_dword v0, off, s[24:27], 0 offset:248 ; 4-byte Folded Spill
	v_mov_b32_e32 v11, s11
	v_fma_f64 v[39:40], v[39:40], -0.5, v[104:105]
	v_fma_f64 v[104:105], v[41:42], s[4:5], v[39:40]
	v_fma_f64 v[132:133], v[41:42], s[2:3], v[39:40]
	v_add_f64 v[39:40], v[106:107], v[142:143]
	v_add_f64 v[41:42], v[140:141], -v[144:145]
	v_add_f64 v[130:131], v[39:40], v[146:147]
	v_add_f64 v[39:40], v[142:143], v[146:147]
	v_fma_f64 v[39:40], v[39:40], -0.5, v[106:107]
	v_fma_f64 v[106:107], v[41:42], s[2:3], v[39:40]
	v_fma_f64 v[134:135], v[41:42], s[4:5], v[39:40]
	v_add_f64 v[39:40], v[100:101], v[148:149]
	v_add_f64 v[41:42], v[150:151], -v[154:155]
	ds_write_b128 v0, v[128:131]
	ds_write_b128 v0, v[104:107] offset:80
	ds_write_b128 v0, v[132:135] offset:160
	v_mul_u32_u24_e32 v0, 15, v13
	v_add_u32_sdwa v0, v0, v14 dst_sel:DWORD dst_unused:UNUSED_PAD src0_sel:DWORD src1_sel:BYTE_0
	v_add_f64 v[136:137], v[39:40], v[152:153]
	v_add_f64 v[39:40], v[148:149], v[152:153]
	v_lshl_add_u32 v0, v0, 4, v24
	buffer_store_dword v0, off, s[24:27], 0 offset:252 ; 4-byte Folded Spill
	v_fma_f64 v[39:40], v[39:40], -0.5, v[100:101]
	v_fma_f64 v[100:101], v[41:42], s[4:5], v[39:40]
	v_fma_f64 v[140:141], v[41:42], s[2:3], v[39:40]
	v_add_f64 v[39:40], v[102:103], v[150:151]
	v_add_f64 v[41:42], v[148:149], -v[152:153]
	v_add_f64 v[138:139], v[39:40], v[154:155]
	v_add_f64 v[39:40], v[150:151], v[154:155]
	v_fma_f64 v[39:40], v[39:40], -0.5, v[102:103]
	v_fma_f64 v[102:103], v[41:42], s[2:3], v[39:40]
	v_fma_f64 v[142:143], v[41:42], s[4:5], v[39:40]
	v_lshlrev_b64 v[39:40], 5, v[4:5]
	ds_write_b128 v0, v[136:139]
	ds_write_b128 v0, v[100:103] offset:80
	ds_write_b128 v0, v[140:143] offset:160
	v_add_co_u32_e32 v39, vcc, s10, v39
	v_addc_co_u32_e32 v40, vcc, v11, v40, vcc
	s_waitcnt vmcnt(0) lgkmcnt(0)
	s_barrier
	ds_read_b128 v[152:155], v16
	ds_read_b128 v[6:9], v16 offset:2160
	ds_read_b128 v[12:15], v16 offset:4320
	;; [unrolled: 1-line block ×14, first 2 shown]
	global_load_dwordx4 v[100:103], v[39:40], off offset:176
	global_load_dwordx4 v[104:107], v[39:40], off offset:160
	v_cmp_lt_u16_e32 vcc, 14, v54
	s_waitcnt vmcnt(0) lgkmcnt(13)
	v_mul_f64 v[39:40], v[8:9], v[106:107]
	v_fma_f64 v[39:40], v[6:7], v[104:105], -v[39:40]
	v_mul_f64 v[5:6], v[6:7], v[106:107]
	v_fma_f64 v[41:42], v[8:9], v[104:105], v[5:6]
	s_waitcnt lgkmcnt(12)
	v_mul_f64 v[5:6], v[14:15], v[102:103]
	v_fma_f64 v[43:44], v[12:13], v[100:101], -v[5:6]
	v_mul_f64 v[5:6], v[12:13], v[102:103]
	v_fma_f64 v[49:50], v[14:15], v[100:101], v[5:6]
	v_mul_lo_u16_sdwa v5, v23, s20 dst_sel:DWORD dst_unused:UNUSED_PAD src0_sel:BYTE_0 src1_sel:DWORD
	v_lshrrev_b16_e32 v5, 11, v5
	v_mul_lo_u16_e32 v6, 15, v5
	v_sub_u16_e32 v6, v23, v6
	v_lshlrev_b32_sdwa v7, v10, v6 dst_sel:DWORD dst_unused:UNUSED_PAD src0_sel:DWORD src1_sel:BYTE_0
	global_load_dwordx4 v[108:111], v7, s[10:11] offset:176
	global_load_dwordx4 v[112:115], v7, s[10:11] offset:160
	s_waitcnt vmcnt(0) lgkmcnt(10)
	v_mul_f64 v[7:8], v[29:30], v[114:115]
	v_fma_f64 v[164:165], v[27:28], v[112:113], -v[7:8]
	v_mul_f64 v[7:8], v[27:28], v[114:115]
	v_fma_f64 v[166:167], v[29:30], v[112:113], v[7:8]
	s_waitcnt lgkmcnt(9)
	v_mul_f64 v[7:8], v[33:34], v[110:111]
	v_add_f64 v[29:30], v[39:40], v[43:44]
	v_fma_f64 v[168:169], v[31:32], v[108:109], -v[7:8]
	v_mul_f64 v[7:8], v[31:32], v[110:111]
	v_fma_f64 v[29:30], v[29:30], -0.5, v[152:153]
	v_fma_f64 v[170:171], v[33:34], v[108:109], v[7:8]
	v_mul_lo_u16_sdwa v7, v25, s20 dst_sel:DWORD dst_unused:UNUSED_PAD src0_sel:BYTE_0 src1_sel:DWORD
	v_lshrrev_b16_e32 v7, 11, v7
	v_mul_lo_u16_e32 v8, 15, v7
	v_sub_u16_e32 v8, v25, v8
	v_lshlrev_b32_sdwa v9, v10, v8 dst_sel:DWORD dst_unused:UNUSED_PAD src0_sel:DWORD src1_sel:BYTE_0
	global_load_dwordx4 v[116:119], v9, s[10:11] offset:176
	global_load_dwordx4 v[120:123], v9, s[10:11] offset:160
	v_mul_lo_u16_sdwa v9, v21, s20 dst_sel:DWORD dst_unused:UNUSED_PAD src0_sel:BYTE_0 src1_sel:DWORD
	v_lshrrev_b16_e32 v9, 11, v9
	v_add_f64 v[33:34], v[41:42], -v[49:50]
	v_fma_f64 v[31:32], v[33:34], s[4:5], v[29:30]
	s_waitcnt vmcnt(0) lgkmcnt(7)
	v_mul_f64 v[12:13], v[37:38], v[122:123]
	v_fma_f64 v[172:173], v[35:36], v[120:121], -v[12:13]
	v_mul_f64 v[12:13], v[35:36], v[122:123]
	v_fma_f64 v[35:36], v[33:34], s[2:3], v[29:30]
	v_add_f64 v[33:34], v[41:42], v[49:50]
	v_add_f64 v[29:30], v[154:155], v[41:42]
	v_add_f64 v[41:42], v[166:167], -v[170:171]
	v_fma_f64 v[174:175], v[37:38], v[120:121], v[12:13]
	s_waitcnt lgkmcnt(6)
	v_mul_f64 v[12:13], v[126:127], v[118:119]
	v_fma_f64 v[37:38], v[33:34], -0.5, v[154:155]
	v_add_f64 v[29:30], v[29:30], v[49:50]
	v_fma_f64 v[176:177], v[124:125], v[116:117], -v[12:13]
	v_mul_f64 v[12:13], v[124:125], v[118:119]
	v_fma_f64 v[178:179], v[126:127], v[116:117], v[12:13]
	v_mul_lo_u16_e32 v12, 15, v9
	v_sub_u16_e32 v12, v21, v12
	v_lshlrev_b32_sdwa v13, v10, v12 dst_sel:DWORD dst_unused:UNUSED_PAD src0_sel:DWORD src1_sel:BYTE_0
	global_load_dwordx4 v[124:127], v13, s[10:11] offset:176
	global_load_dwordx4 v[128:131], v13, s[10:11] offset:160
	s_waitcnt vmcnt(0) lgkmcnt(4)
	v_mul_f64 v[13:14], v[134:135], v[130:131]
	v_fma_f64 v[180:181], v[132:133], v[128:129], -v[13:14]
	v_mul_f64 v[13:14], v[132:133], v[130:131]
	v_fma_f64 v[182:183], v[134:135], v[128:129], v[13:14]
	s_waitcnt lgkmcnt(3)
	v_mul_f64 v[13:14], v[138:139], v[126:127]
	v_fma_f64 v[184:185], v[136:137], v[124:125], -v[13:14]
	v_mul_f64 v[13:14], v[136:137], v[126:127]
	v_fma_f64 v[186:187], v[138:139], v[124:125], v[13:14]
	v_mul_lo_u16_sdwa v13, v22, s20 dst_sel:DWORD dst_unused:UNUSED_PAD src0_sel:BYTE_0 src1_sel:DWORD
	v_lshrrev_b16_e32 v13, 11, v13
	v_mul_lo_u16_e32 v14, 15, v13
	v_sub_u16_e32 v14, v22, v14
	v_lshlrev_b32_sdwa v15, v10, v14 dst_sel:DWORD dst_unused:UNUSED_PAD src0_sel:DWORD src1_sel:BYTE_0
	global_load_dwordx4 v[132:135], v15, s[10:11] offset:176
	global_load_dwordx4 v[136:139], v15, s[10:11] offset:160
	v_cndmask_b32_e64 v15, 0, 45, vcc
	v_add_u32_e32 v4, v4, v15
	v_lshl_add_u32 v4, v4, 4, v24
	s_waitcnt vmcnt(0) lgkmcnt(0)
	s_barrier
	buffer_store_dword v4, off, s[24:27], 0 offset:260 ; 4-byte Folded Spill
	s_movk_i32 s20, 0xffee
	v_mul_f64 v[27:28], v[158:159], v[138:139]
	v_fma_f64 v[188:189], v[156:157], v[136:137], -v[27:28]
	v_mul_f64 v[27:28], v[156:157], v[138:139]
	v_fma_f64 v[190:191], v[158:159], v[136:137], v[27:28]
	v_mul_f64 v[27:28], v[162:163], v[134:135]
	v_fma_f64 v[192:193], v[160:161], v[132:133], -v[27:28]
	v_mul_f64 v[27:28], v[160:161], v[134:135]
	v_fma_f64 v[194:195], v[162:163], v[132:133], v[27:28]
	v_add_f64 v[27:28], v[152:153], v[39:40]
	v_add_f64 v[39:40], v[39:40], -v[43:44]
	v_add_f64 v[27:28], v[27:28], v[43:44]
	v_fma_f64 v[33:34], v[39:40], s[2:3], v[37:38]
	v_fma_f64 v[37:38], v[39:40], s[4:5], v[37:38]
	v_add_f64 v[39:40], v[0:1], v[164:165]
	ds_write_b128 v4, v[27:30]
	ds_write_b128 v4, v[31:34] offset:240
	ds_write_b128 v4, v[35:38] offset:480
	v_mul_u32_u24_e32 v4, 45, v5
	v_add_u32_sdwa v4, v4, v6 dst_sel:DWORD dst_unused:UNUSED_PAD src0_sel:DWORD src1_sel:BYTE_0
	v_add_f64 v[152:153], v[39:40], v[168:169]
	v_add_f64 v[39:40], v[164:165], v[168:169]
	v_lshl_add_u32 v4, v4, 4, v24
	buffer_store_dword v4, off, s[24:27], 0 offset:264 ; 4-byte Folded Spill
	v_fma_f64 v[39:40], v[39:40], -0.5, v[0:1]
	v_fma_f64 v[0:1], v[41:42], s[4:5], v[39:40]
	v_fma_f64 v[156:157], v[41:42], s[2:3], v[39:40]
	v_add_f64 v[39:40], v[2:3], v[166:167]
	v_add_f64 v[41:42], v[164:165], -v[168:169]
	v_add_f64 v[154:155], v[39:40], v[170:171]
	v_add_f64 v[39:40], v[166:167], v[170:171]
	v_fma_f64 v[39:40], v[39:40], -0.5, v[2:3]
	v_fma_f64 v[2:3], v[41:42], s[2:3], v[39:40]
	v_fma_f64 v[158:159], v[41:42], s[4:5], v[39:40]
	v_add_f64 v[39:40], v[148:149], v[172:173]
	v_add_f64 v[41:42], v[174:175], -v[178:179]
	ds_write_b128 v4, v[152:155]
	ds_write_b128 v4, v[0:3] offset:240
	ds_write_b128 v4, v[156:159] offset:480
	v_mul_u32_u24_e32 v0, 45, v7
	v_add_u32_sdwa v0, v0, v8 dst_sel:DWORD dst_unused:UNUSED_PAD src0_sel:DWORD src1_sel:BYTE_0
	v_add_f64 v[160:161], v[39:40], v[176:177]
	v_add_f64 v[39:40], v[172:173], v[176:177]
	v_lshl_add_u32 v0, v0, 4, v24
	buffer_store_dword v0, off, s[24:27], 0 offset:268 ; 4-byte Folded Spill
	v_fma_f64 v[39:40], v[39:40], -0.5, v[148:149]
	v_fma_f64 v[148:149], v[41:42], s[4:5], v[39:40]
	v_fma_f64 v[164:165], v[41:42], s[2:3], v[39:40]
	v_add_f64 v[39:40], v[150:151], v[174:175]
	v_add_f64 v[41:42], v[172:173], -v[176:177]
	v_add_f64 v[162:163], v[39:40], v[178:179]
	v_add_f64 v[39:40], v[174:175], v[178:179]
	v_fma_f64 v[39:40], v[39:40], -0.5, v[150:151]
	v_fma_f64 v[150:151], v[41:42], s[2:3], v[39:40]
	v_fma_f64 v[166:167], v[41:42], s[4:5], v[39:40]
	v_add_f64 v[39:40], v[144:145], v[180:181]
	v_add_f64 v[41:42], v[182:183], -v[186:187]
	ds_write_b128 v0, v[160:163]
	ds_write_b128 v0, v[148:151] offset:240
	ds_write_b128 v0, v[164:167] offset:480
	v_mul_u32_u24_e32 v0, 45, v9
	v_add_u32_sdwa v0, v0, v12 dst_sel:DWORD dst_unused:UNUSED_PAD src0_sel:DWORD src1_sel:BYTE_0
	v_add_f64 v[168:169], v[39:40], v[184:185]
	v_add_f64 v[39:40], v[180:181], v[184:185]
	v_lshl_add_u32 v0, v0, 4, v24
	buffer_store_dword v0, off, s[24:27], 0 offset:272 ; 4-byte Folded Spill
	v_lshlrev_b32_e32 v12, 5, v54
	v_fma_f64 v[39:40], v[39:40], -0.5, v[144:145]
	v_fma_f64 v[144:145], v[41:42], s[4:5], v[39:40]
	v_fma_f64 v[172:173], v[41:42], s[2:3], v[39:40]
	v_add_f64 v[39:40], v[146:147], v[182:183]
	v_add_f64 v[41:42], v[180:181], -v[184:185]
	v_add_f64 v[170:171], v[39:40], v[186:187]
	v_add_f64 v[39:40], v[182:183], v[186:187]
	v_fma_f64 v[39:40], v[39:40], -0.5, v[146:147]
	v_fma_f64 v[146:147], v[41:42], s[2:3], v[39:40]
	v_fma_f64 v[174:175], v[41:42], s[4:5], v[39:40]
	v_add_f64 v[39:40], v[140:141], v[188:189]
	v_add_f64 v[41:42], v[190:191], -v[194:195]
	ds_write_b128 v0, v[168:171]
	ds_write_b128 v0, v[144:147] offset:240
	ds_write_b128 v0, v[172:175] offset:480
	v_mul_u32_u24_e32 v0, 45, v13
	v_add_u32_sdwa v0, v0, v14 dst_sel:DWORD dst_unused:UNUSED_PAD src0_sel:DWORD src1_sel:BYTE_0
	v_add_f64 v[176:177], v[39:40], v[192:193]
	v_add_f64 v[39:40], v[188:189], v[192:193]
	v_lshl_add_u32 v0, v0, 4, v24
	buffer_store_dword v0, off, s[24:27], 0 offset:276 ; 4-byte Folded Spill
	v_fma_f64 v[39:40], v[39:40], -0.5, v[140:141]
	v_fma_f64 v[140:141], v[41:42], s[4:5], v[39:40]
	v_fma_f64 v[180:181], v[41:42], s[2:3], v[39:40]
	v_add_f64 v[39:40], v[142:143], v[190:191]
	v_add_f64 v[41:42], v[188:189], -v[192:193]
	v_add_f64 v[178:179], v[39:40], v[194:195]
	v_add_f64 v[39:40], v[190:191], v[194:195]
	v_fma_f64 v[39:40], v[39:40], -0.5, v[142:143]
	v_fma_f64 v[142:143], v[41:42], s[2:3], v[39:40]
	v_fma_f64 v[182:183], v[41:42], s[4:5], v[39:40]
	ds_write_b128 v0, v[176:179]
	ds_write_b128 v0, v[140:143] offset:240
	ds_write_b128 v0, v[180:183] offset:480
	s_waitcnt vmcnt(0) lgkmcnt(0)
	s_barrier
	ds_read_b128 v[4:7], v16
	ds_read_b128 v[27:30], v16 offset:2160
	ds_read_b128 v[31:34], v16 offset:4320
	;; [unrolled: 1-line block ×14, first 2 shown]
	global_load_dwordx4 v[144:147], v12, s[10:11] offset:656
	global_load_dwordx4 v[148:151], v12, s[10:11] offset:640
	s_waitcnt vmcnt(0) lgkmcnt(13)
	v_mul_f64 v[8:9], v[29:30], v[150:151]
	v_fma_f64 v[13:14], v[27:28], v[148:149], -v[8:9]
	v_mul_f64 v[8:9], v[27:28], v[150:151]
	v_fma_f64 v[39:40], v[29:30], v[148:149], v[8:9]
	s_waitcnt lgkmcnt(12)
	v_mul_f64 v[8:9], v[33:34], v[146:147]
	v_fma_f64 v[41:42], v[31:32], v[144:145], -v[8:9]
	v_mul_f64 v[8:9], v[31:32], v[146:147]
	v_add_f64 v[28:29], v[13:14], v[41:42]
	v_fma_f64 v[32:33], v[33:34], v[144:145], v[8:9]
	v_add_co_u32_e32 v8, vcc, s20, v54
	v_addc_co_u32_e64 v9, s[20:21], 0, -1, vcc
	v_cmp_gt_u16_e32 vcc, 18, v54
	v_cndmask_b32_e32 v9, v9, v26, vcc
	v_cndmask_b32_e32 v8, v8, v23, vcc
	v_lshlrev_b64 v[26:27], 5, v[8:9]
	s_movk_i32 s20, 0x6d
	v_add_co_u32_e32 v26, vcc, s10, v26
	v_addc_co_u32_e32 v27, vcc, v11, v27, vcc
	global_load_dwordx4 v[156:159], v[26:27], off offset:656
	global_load_dwordx4 v[160:163], v[26:27], off offset:640
	v_mul_lo_u16_sdwa v9, v21, s20 dst_sel:DWORD dst_unused:UNUSED_PAD src0_sel:BYTE_0 src1_sel:DWORD
	v_sub_u16_sdwa v11, v21, v9 dst_sel:DWORD dst_unused:UNUSED_PAD src0_sel:DWORD src1_sel:BYTE_1
	v_lshrrev_b16_e32 v11, 1, v11
	v_and_b32_e32 v11, 0x7f, v11
	v_add_u16_sdwa v9, v11, v9 dst_sel:DWORD dst_unused:UNUSED_PAD src0_sel:DWORD src1_sel:BYTE_1
	v_lshrrev_b16_e32 v11, 5, v9
	v_mul_lo_u16_e32 v9, 45, v11
	v_sub_u16_e32 v15, v21, v9
	v_lshlrev_b32_sdwa v9, v10, v15 dst_sel:DWORD dst_unused:UNUSED_PAD src0_sel:DWORD src1_sel:BYTE_0
	v_mul_lo_u16_sdwa v17, v22, s20 dst_sel:DWORD dst_unused:UNUSED_PAD src0_sel:BYTE_0 src1_sel:DWORD
	v_sub_u16_sdwa v18, v22, v17 dst_sel:DWORD dst_unused:UNUSED_PAD src0_sel:DWORD src1_sel:BYTE_1
	v_lshrrev_b16_e32 v18, 1, v18
	v_and_b32_e32 v18, 0x7f, v18
	v_add_u16_sdwa v17, v18, v17 dst_sel:DWORD dst_unused:UNUSED_PAD src0_sel:DWORD src1_sel:BYTE_1
	v_lshrrev_b16_e32 v17, 5, v17
	v_mul_lo_u16_e32 v17, 45, v17
	v_sub_u16_e32 v17, v22, v17
	v_and_b32_e32 v17, 0xff, v17
	v_lshlrev_b32_e32 v18, 5, v17
	v_fma_f64 v[28:29], v[28:29], -0.5, v[4:5]
	v_add_f64 v[30:31], v[39:40], -v[32:33]
	v_cmp_lt_u16_e32 vcc, 17, v54
	s_waitcnt vmcnt(0) lgkmcnt(10)
	v_mul_f64 v[26:27], v[37:38], v[162:163]
	v_fma_f64 v[43:44], v[35:36], v[160:161], -v[26:27]
	v_mul_f64 v[26:27], v[35:36], v[162:163]
	v_fma_f64 v[49:50], v[37:38], v[160:161], v[26:27]
	s_waitcnt lgkmcnt(9)
	v_mul_f64 v[26:27], v[154:155], v[158:159]
	v_fma_f64 v[204:205], v[152:153], v[156:157], -v[26:27]
	v_mul_f64 v[26:27], v[152:153], v[158:159]
	v_fma_f64 v[206:207], v[154:155], v[156:157], v[26:27]
	global_load_dwordx4 v[152:155], v12, s[10:11] offset:944
	global_load_dwordx4 v[164:167], v12, s[10:11] offset:928
	v_add_f64 v[36:37], v[49:50], -v[206:207]
	s_waitcnt vmcnt(0) lgkmcnt(7)
	v_mul_f64 v[26:27], v[170:171], v[166:167]
	v_fma_f64 v[208:209], v[168:169], v[164:165], -v[26:27]
	v_mul_f64 v[26:27], v[168:169], v[166:167]
	v_fma_f64 v[210:211], v[170:171], v[164:165], v[26:27]
	s_waitcnt lgkmcnt(6)
	v_mul_f64 v[26:27], v[174:175], v[154:155]
	v_fma_f64 v[212:213], v[172:173], v[152:153], -v[26:27]
	v_mul_f64 v[26:27], v[172:173], v[154:155]
	v_fma_f64 v[214:215], v[174:175], v[152:153], v[26:27]
	global_load_dwordx4 v[168:171], v9, s[10:11] offset:656
	global_load_dwordx4 v[172:175], v9, s[10:11] offset:640
	s_waitcnt vmcnt(0) lgkmcnt(4)
	v_mul_f64 v[26:27], v[184:185], v[174:175]
	v_mul_f64 v[9:10], v[186:187], v[174:175]
	v_fma_f64 v[216:217], v[186:187], v[172:173], v[26:27]
	s_waitcnt lgkmcnt(3)
	v_mul_f64 v[26:27], v[190:191], v[170:171]
	v_fma_f64 v[9:10], v[184:185], v[172:173], -v[9:10]
	v_fma_f64 v[218:219], v[188:189], v[168:169], -v[26:27]
	v_mul_f64 v[26:27], v[188:189], v[170:171]
	v_fma_f64 v[220:221], v[190:191], v[168:169], v[26:27]
	global_load_dwordx4 v[188:191], v18, s[10:11] offset:656
	global_load_dwordx4 v[196:199], v18, s[10:11] offset:640
	s_waitcnt vmcnt(0) lgkmcnt(0)
	s_barrier
	v_mul_f64 v[26:27], v[194:195], v[198:199]
	v_fma_f64 v[222:223], v[192:193], v[196:197], -v[26:27]
	v_mul_f64 v[26:27], v[192:193], v[198:199]
	v_fma_f64 v[224:225], v[194:195], v[196:197], v[26:27]
	v_mul_f64 v[26:27], v[202:203], v[190:191]
	v_fma_f64 v[226:227], v[200:201], v[188:189], -v[26:27]
	v_mul_f64 v[26:27], v[200:201], v[190:191]
	v_fma_f64 v[228:229], v[202:203], v[188:189], v[26:27]
	v_add_f64 v[26:27], v[4:5], v[13:14]
	v_fma_f64 v[4:5], v[30:31], s[4:5], v[28:29]
	v_fma_f64 v[30:31], v[30:31], s[2:3], v[28:29]
	v_add_f64 v[28:29], v[6:7], v[39:40]
	v_add_f64 v[13:14], v[13:14], -v[41:42]
	v_add_f64 v[26:27], v[26:27], v[41:42]
	v_add_f64 v[28:29], v[28:29], v[32:33]
	;; [unrolled: 1-line block ×3, first 2 shown]
	v_add_f64 v[38:39], v[43:44], -v[204:205]
	v_fma_f64 v[32:33], v[32:33], -0.5, v[6:7]
	v_fma_f64 v[6:7], v[13:14], s[2:3], v[32:33]
	v_fma_f64 v[32:33], v[13:14], s[4:5], v[32:33]
	v_add_f64 v[13:14], v[180:181], v[43:44]
	ds_write_b128 v16, v[26:29]
	ds_write_b128 v16, v[4:7] offset:720
	ds_write_b128 v16, v[30:33] offset:1440
	v_mov_b32_e32 v4, 0x87
	v_cndmask_b32_e32 v4, 0, v4, vcc
	v_add_f64 v[34:35], v[13:14], v[204:205]
	v_add_f64 v[13:14], v[43:44], v[204:205]
	v_add_u32_e32 v4, v8, v4
	v_lshl_add_u32 v4, v4, 4, v24
	buffer_store_dword v4, off, s[24:27], 0 offset:280 ; 4-byte Folded Spill
	v_fma_f64 v[13:14], v[13:14], -0.5, v[180:181]
	v_fma_f64 v[180:181], v[36:37], s[4:5], v[13:14]
	v_fma_f64 v[184:185], v[36:37], s[2:3], v[13:14]
	v_add_f64 v[13:14], v[182:183], v[49:50]
	v_add_f64 v[36:37], v[13:14], v[206:207]
	;; [unrolled: 1-line block ×3, first 2 shown]
	v_lshl_add_u32 v49, v17, 4, v24
	v_fma_f64 v[13:14], v[13:14], -0.5, v[182:183]
	v_fma_f64 v[182:183], v[38:39], s[2:3], v[13:14]
	v_fma_f64 v[186:187], v[38:39], s[4:5], v[13:14]
	v_add_f64 v[13:14], v[0:1], v[208:209]
	v_add_f64 v[38:39], v[210:211], -v[214:215]
	v_add_f64 v[192:193], v[13:14], v[212:213]
	v_add_f64 v[13:14], v[208:209], v[212:213]
	v_fma_f64 v[13:14], v[13:14], -0.5, v[0:1]
	v_fma_f64 v[0:1], v[38:39], s[4:5], v[13:14]
	v_fma_f64 v[200:201], v[38:39], s[2:3], v[13:14]
	v_add_f64 v[13:14], v[2:3], v[210:211]
	v_add_f64 v[38:39], v[208:209], -v[212:213]
	v_add_f64 v[194:195], v[13:14], v[214:215]
	v_add_f64 v[13:14], v[210:211], v[214:215]
	v_fma_f64 v[13:14], v[13:14], -0.5, v[2:3]
	v_fma_f64 v[2:3], v[38:39], s[2:3], v[13:14]
	v_fma_f64 v[202:203], v[38:39], s[4:5], v[13:14]
	v_add_f64 v[13:14], v[176:177], v[9:10]
	v_add_f64 v[38:39], v[216:217], -v[220:221]
	ds_write_b128 v4, v[34:37]
	ds_write_b128 v4, v[180:183] offset:720
	ds_write_b128 v4, v[184:187] offset:1440
	;; [unrolled: 1-line block ×5, first 2 shown]
	v_mul_u32_u24_e32 v0, 0x87, v11
	v_add_u32_sdwa v0, v0, v15 dst_sel:DWORD dst_unused:UNUSED_PAD src0_sel:DWORD src1_sel:BYTE_0
	v_lshl_add_u32 v50, v0, 4, v24
	v_add_f64 v[204:205], v[13:14], v[218:219]
	v_add_f64 v[13:14], v[9:10], v[218:219]
	v_add_f64 v[9:10], v[9:10], -v[218:219]
	v_fma_f64 v[13:14], v[13:14], -0.5, v[176:177]
	v_fma_f64 v[176:177], v[38:39], s[4:5], v[13:14]
	v_fma_f64 v[208:209], v[38:39], s[2:3], v[13:14]
	v_add_f64 v[13:14], v[178:179], v[216:217]
	v_add_f64 v[206:207], v[13:14], v[220:221]
	;; [unrolled: 1-line block ×3, first 2 shown]
	v_fma_f64 v[13:14], v[13:14], -0.5, v[178:179]
	v_fma_f64 v[178:179], v[9:10], s[2:3], v[13:14]
	v_fma_f64 v[210:211], v[9:10], s[4:5], v[13:14]
	v_add_f64 v[9:10], v[140:141], v[222:223]
	v_add_f64 v[13:14], v[224:225], -v[228:229]
	ds_write_b128 v50, v[204:207]
	ds_write_b128 v50, v[176:179] offset:720
	ds_write_b128 v50, v[208:211] offset:1440
	v_add_f64 v[212:213], v[9:10], v[226:227]
	v_add_f64 v[9:10], v[222:223], v[226:227]
	v_fma_f64 v[9:10], v[9:10], -0.5, v[140:141]
	v_fma_f64 v[140:141], v[13:14], s[4:5], v[9:10]
	v_fma_f64 v[216:217], v[13:14], s[2:3], v[9:10]
	v_add_f64 v[9:10], v[142:143], v[224:225]
	v_add_f64 v[13:14], v[222:223], -v[226:227]
	v_add_f64 v[214:215], v[9:10], v[228:229]
	v_add_f64 v[9:10], v[224:225], v[228:229]
	v_fma_f64 v[9:10], v[9:10], -0.5, v[142:143]
	v_fma_f64 v[142:143], v[13:14], s[2:3], v[9:10]
	v_fma_f64 v[218:219], v[13:14], s[4:5], v[9:10]
	ds_write_b128 v49, v[212:215] offset:4320
	ds_write_b128 v49, v[140:143] offset:5040
	;; [unrolled: 1-line block ×3, first 2 shown]
	s_waitcnt vmcnt(0) lgkmcnt(0)
	s_barrier
	ds_read_b128 v[8:11], v16
	ds_read_b128 v[26:29], v16 offset:2160
	ds_read_b128 v[30:33], v16 offset:4320
	;; [unrolled: 1-line block ×14, first 2 shown]
	global_load_dwordx4 v[140:143], v12, s[10:11] offset:2096
	global_load_dwordx4 v[176:179], v12, s[10:11] offset:2080
	s_waitcnt vmcnt(0) lgkmcnt(13)
	v_mul_f64 v[12:13], v[28:29], v[178:179]
	v_fma_f64 v[38:39], v[26:27], v[176:177], -v[12:13]
	v_mul_f64 v[12:13], v[26:27], v[178:179]
	v_fma_f64 v[26:27], v[28:29], v[176:177], v[12:13]
	s_waitcnt lgkmcnt(12)
	v_mul_f64 v[12:13], v[32:33], v[142:143]
	v_fma_f64 v[28:29], v[30:31], v[140:141], -v[12:13]
	v_mul_f64 v[12:13], v[30:31], v[142:143]
	v_fma_f64 v[30:31], v[32:33], v[140:141], v[12:13]
	v_lshlrev_b32_e32 v12, 5, v23
	global_load_dwordx4 v[180:183], v12, s[10:11] offset:2096
	global_load_dwordx4 v[184:187], v12, s[10:11] offset:2080
	v_add_f64 v[23:24], v[26:27], -v[30:31]
	s_waitcnt vmcnt(0) lgkmcnt(10)
	v_mul_f64 v[12:13], v[194:195], v[186:187]
	v_fma_f64 v[40:41], v[192:193], v[184:185], -v[12:13]
	v_mul_f64 v[12:13], v[192:193], v[186:187]
	v_fma_f64 v[42:43], v[194:195], v[184:185], v[12:13]
	s_waitcnt lgkmcnt(9)
	v_mul_f64 v[12:13], v[202:203], v[182:183]
	v_fma_f64 v[236:237], v[200:201], v[180:181], -v[12:13]
	v_mul_f64 v[12:13], v[200:201], v[182:183]
	v_fma_f64 v[238:239], v[202:203], v[180:181], v[12:13]
	v_lshlrev_b32_e32 v12, 5, v25
	global_load_dwordx4 v[192:195], v12, s[10:11] offset:2096
	global_load_dwordx4 v[204:207], v12, s[10:11] offset:2080
	s_waitcnt vmcnt(0) lgkmcnt(7)
	v_mul_f64 v[12:13], v[210:211], v[206:207]
	v_fma_f64 v[240:241], v[208:209], v[204:205], -v[12:13]
	v_mul_f64 v[12:13], v[208:209], v[206:207]
	v_fma_f64 v[242:243], v[210:211], v[204:205], v[12:13]
	s_waitcnt lgkmcnt(6)
	v_mul_f64 v[12:13], v[214:215], v[194:195]
	v_fma_f64 v[244:245], v[212:213], v[192:193], -v[12:13]
	v_mul_f64 v[12:13], v[212:213], v[194:195]
	v_fma_f64 v[246:247], v[214:215], v[192:193], v[12:13]
	v_lshlrev_b32_e32 v12, 5, v21
	global_load_dwordx4 v[200:203], v12, s[10:11] offset:2096
	global_load_dwordx4 v[212:215], v12, s[10:11] offset:2080
	s_waitcnt vmcnt(0) lgkmcnt(4)
	v_mul_f64 v[12:13], v[218:219], v[214:215]
	v_fma_f64 v[248:249], v[216:217], v[212:213], -v[12:13]
	v_mul_f64 v[12:13], v[216:217], v[214:215]
	v_fma_f64 v[250:251], v[218:219], v[212:213], v[12:13]
	s_waitcnt lgkmcnt(3)
	v_mul_f64 v[12:13], v[226:227], v[202:203]
	v_fma_f64 v[252:253], v[224:225], v[200:201], -v[12:13]
	v_mul_f64 v[12:13], v[224:225], v[202:203]
	v_fma_f64 v[254:255], v[226:227], v[200:201], v[12:13]
	v_lshlrev_b32_e32 v12, 5, v22
	v_add_f64 v[21:22], v[8:9], v[38:39]
	global_load_dwordx4 v[208:211], v12, s[10:11] offset:2096
	global_load_dwordx4 v[216:219], v12, s[10:11] offset:2080
	v_add_f64 v[226:227], v[240:241], -v[244:245]
	s_movk_i32 s10, 0x1950
	v_add_f64 v[44:45], v[21:22], v[28:29]
	v_add_f64 v[21:22], v[38:39], v[28:29]
	v_fma_f64 v[21:22], v[21:22], -0.5, v[8:9]
	v_fma_f64 v[8:9], v[23:24], s[4:5], v[21:22]
	v_fma_f64 v[21:22], v[23:24], s[2:3], v[21:22]
	v_add_f64 v[23:24], v[10:11], v[26:27]
	v_add_f64 v[46:47], v[23:24], v[30:31]
	;; [unrolled: 1-line block ×3, first 2 shown]
	v_add_f64 v[25:26], v[38:39], -v[28:29]
	v_add_f64 v[27:28], v[40:41], v[236:237]
	v_add_f64 v[31:32], v[42:43], -v[238:239]
	v_fma_f64 v[23:24], v[23:24], -0.5, v[10:11]
	v_fma_f64 v[27:28], v[27:28], -0.5, v[34:35]
	v_fma_f64 v[10:11], v[25:26], s[2:3], v[23:24]
	v_fma_f64 v[23:24], v[25:26], s[4:5], v[23:24]
	v_add_f64 v[25:26], v[34:35], v[40:41]
	v_fma_f64 v[29:30], v[31:32], s[4:5], v[27:28]
	v_fma_f64 v[33:34], v[31:32], s[2:3], v[27:28]
	v_add_f64 v[31:32], v[42:43], v[238:239]
	v_add_f64 v[27:28], v[36:37], v[42:43]
	;; [unrolled: 1-line block ×3, first 2 shown]
	v_fma_f64 v[35:36], v[31:32], -0.5, v[36:37]
	v_add_f64 v[37:38], v[40:41], -v[236:237]
	v_add_f64 v[39:40], v[240:241], v[244:245]
	v_add_f64 v[41:42], v[242:243], -v[246:247]
	v_add_f64 v[27:28], v[27:28], v[238:239]
	v_fma_f64 v[31:32], v[37:38], s[2:3], v[35:36]
	v_fma_f64 v[39:40], v[39:40], -0.5, v[4:5]
	v_fma_f64 v[35:36], v[37:38], s[4:5], v[35:36]
	v_add_f64 v[37:38], v[4:5], v[240:241]
	s_waitcnt vmcnt(1) lgkmcnt(0)
	v_mul_f64 v[17:18], v[234:235], v[210:211]
	s_waitcnt vmcnt(0)
	v_mul_f64 v[12:13], v[230:231], v[218:219]
	v_mul_f64 v[14:15], v[228:229], v[218:219]
	v_fma_f64 v[4:5], v[41:42], s[4:5], v[39:40]
	v_fma_f64 v[224:225], v[41:42], s[2:3], v[39:40]
	v_add_f64 v[41:42], v[242:243], v[246:247]
	v_add_f64 v[39:40], v[6:7], v[242:243]
	v_add_f64 v[37:38], v[37:38], v[244:245]
	v_fma_f64 v[19:20], v[228:229], v[216:217], -v[12:13]
	v_fma_f64 v[14:15], v[230:231], v[216:217], v[14:15]
	v_add_f64 v[230:231], v[250:251], -v[254:255]
	v_fma_f64 v[12:13], v[232:233], v[208:209], -v[17:18]
	v_fma_f64 v[41:42], v[41:42], -0.5, v[6:7]
	v_mul_f64 v[17:18], v[232:233], v[210:211]
	v_add_f64 v[39:40], v[39:40], v[246:247]
	v_fma_f64 v[6:7], v[226:227], s[2:3], v[41:42]
	v_fma_f64 v[226:227], v[226:227], s[4:5], v[41:42]
	v_add_f64 v[41:42], v[220:221], v[248:249]
	v_fma_f64 v[17:18], v[234:235], v[208:209], v[17:18]
	v_add_f64 v[234:235], v[248:249], -v[252:253]
	v_add_f64 v[228:229], v[41:42], v[252:253]
	v_add_f64 v[41:42], v[248:249], v[252:253]
	v_add_f64 v[238:239], v[14:15], -v[17:18]
	v_fma_f64 v[41:42], v[41:42], -0.5, v[220:221]
	v_fma_f64 v[220:221], v[230:231], s[4:5], v[41:42]
	v_fma_f64 v[232:233], v[230:231], s[2:3], v[41:42]
	v_add_f64 v[41:42], v[222:223], v[250:251]
	v_add_f64 v[230:231], v[41:42], v[254:255]
	;; [unrolled: 1-line block ×3, first 2 shown]
	v_fma_f64 v[41:42], v[41:42], -0.5, v[222:223]
	v_fma_f64 v[222:223], v[234:235], s[2:3], v[41:42]
	v_fma_f64 v[234:235], v[234:235], s[4:5], v[41:42]
	v_add_f64 v[41:42], v[0:1], v[19:20]
	v_add_f64 v[236:237], v[41:42], v[12:13]
	;; [unrolled: 1-line block ×3, first 2 shown]
	v_add_f64 v[12:13], v[19:20], -v[12:13]
	v_fma_f64 v[41:42], v[41:42], -0.5, v[0:1]
	v_fma_f64 v[0:1], v[238:239], s[4:5], v[41:42]
	v_fma_f64 v[240:241], v[238:239], s[2:3], v[41:42]
	v_add_f64 v[41:42], v[2:3], v[14:15]
	v_add_f64 v[14:15], v[14:15], v[17:18]
	;; [unrolled: 1-line block ×3, first 2 shown]
	v_fma_f64 v[14:15], v[14:15], -0.5, v[2:3]
	v_fma_f64 v[2:3], v[12:13], s[2:3], v[14:15]
	v_fma_f64 v[242:243], v[12:13], s[4:5], v[14:15]
	ds_write_b128 v16, v[44:47]
	ds_write_b128 v16, v[8:11] offset:2160
	ds_write_b128 v16, v[21:24] offset:4320
	;; [unrolled: 1-line block ×14, first 2 shown]
	s_waitcnt lgkmcnt(0)
	s_barrier
	global_load_dwordx4 v[8:11], v[52:53], off offset:2384
	buffer_load_dword v17, off, s[24:27], 0 offset:232 ; 4-byte Folded Reload
	buffer_load_dword v18, off, s[24:27], 0 offset:236 ; 4-byte Folded Reload
	ds_read_b128 v[4:7], v16
	s_waitcnt vmcnt(2) lgkmcnt(0)
	v_mul_f64 v[0:1], v[6:7], v[10:11]
	s_waitcnt vmcnt(1)
	v_add_co_u32_e32 v2, vcc, s10, v17
	s_waitcnt vmcnt(0)
	v_addc_co_u32_e32 v3, vcc, 0, v18, vcc
	s_movk_i32 s10, 0x2000
	v_fma_f64 v[12:13], v[4:5], v[8:9], -v[0:1]
	v_mul_f64 v[0:1], v[4:5], v[10:11]
	v_fma_f64 v[14:15], v[6:7], v[8:9], v[0:1]
	global_load_dwordx4 v[8:11], v[2:3], off offset:1296
	ds_read_b128 v[4:7], v16 offset:1296
	ds_write_b128 v16, v[12:15]
	s_waitcnt vmcnt(0) lgkmcnt(1)
	v_mul_f64 v[0:1], v[6:7], v[10:11]
	v_fma_f64 v[12:13], v[4:5], v[8:9], -v[0:1]
	v_mul_f64 v[0:1], v[4:5], v[10:11]
	v_fma_f64 v[14:15], v[6:7], v[8:9], v[0:1]
	global_load_dwordx4 v[8:11], v[2:3], off offset:2592
	ds_read_b128 v[4:7], v16 offset:2592
	ds_write_b128 v16, v[12:15] offset:1296
	s_waitcnt vmcnt(0) lgkmcnt(1)
	v_mul_f64 v[0:1], v[6:7], v[10:11]
	v_fma_f64 v[12:13], v[4:5], v[8:9], -v[0:1]
	v_mul_f64 v[0:1], v[4:5], v[10:11]
	v_fma_f64 v[14:15], v[6:7], v[8:9], v[0:1]
	global_load_dwordx4 v[8:11], v[2:3], off offset:3888
	ds_read_b128 v[4:7], v16 offset:3888
	ds_write_b128 v16, v[12:15] offset:2592
	s_waitcnt vmcnt(0) lgkmcnt(1)
	v_mul_f64 v[0:1], v[6:7], v[10:11]
	v_fma_f64 v[12:13], v[4:5], v[8:9], -v[0:1]
	v_mul_f64 v[0:1], v[4:5], v[10:11]
	v_fma_f64 v[14:15], v[6:7], v[8:9], v[0:1]
	v_add_co_u32_e32 v0, vcc, s10, v17
	v_addc_co_u32_e32 v1, vcc, 0, v18, vcc
	global_load_dwordx4 v[8:11], v[0:1], off offset:3472
	ds_read_b128 v[4:7], v16 offset:5184
	s_movk_i32 s10, 0x3000
	ds_write_b128 v16, v[12:15] offset:3888
	s_waitcnt vmcnt(0) lgkmcnt(1)
	v_mul_f64 v[12:13], v[6:7], v[10:11]
	v_fma_f64 v[12:13], v[4:5], v[8:9], -v[12:13]
	v_mul_f64 v[4:5], v[4:5], v[10:11]
	v_fma_f64 v[14:15], v[6:7], v[8:9], v[4:5]
	global_load_dwordx4 v[8:11], v[2:3], off offset:432
	ds_read_b128 v[4:7], v16 offset:432
	ds_write_b128 v16, v[12:15] offset:5184
	s_waitcnt vmcnt(0) lgkmcnt(1)
	v_mul_f64 v[12:13], v[6:7], v[10:11]
	v_fma_f64 v[12:13], v[4:5], v[8:9], -v[12:13]
	v_mul_f64 v[4:5], v[4:5], v[10:11]
	v_fma_f64 v[14:15], v[6:7], v[8:9], v[4:5]
	global_load_dwordx4 v[8:11], v[2:3], off offset:1728
	ds_read_b128 v[4:7], v16 offset:1728
	;; [unrolled: 8-line block ×8, first 2 shown]
	ds_write_b128 v16, v[12:15] offset:2160
	s_waitcnt vmcnt(0) lgkmcnt(1)
	v_mul_f64 v[2:3], v[6:7], v[10:11]
	v_fma_f64 v[2:3], v[4:5], v[8:9], -v[2:3]
	v_mul_f64 v[4:5], v[4:5], v[10:11]
	v_fma_f64 v[4:5], v[6:7], v[8:9], v[4:5]
	global_load_dwordx4 v[6:9], v[0:1], off offset:3040
	ds_write_b128 v16, v[2:5] offset:3456
	ds_read_b128 v[2:5], v16 offset:4752
	s_waitcnt vmcnt(0) lgkmcnt(0)
	v_mul_f64 v[0:1], v[4:5], v[8:9]
	v_fma_f64 v[0:1], v[2:3], v[6:7], -v[0:1]
	v_mul_f64 v[2:3], v[2:3], v[8:9]
	v_fma_f64 v[2:3], v[4:5], v[6:7], v[2:3]
	v_add_co_u32_e32 v4, vcc, s10, v17
	v_addc_co_u32_e32 v5, vcc, 0, v18, vcc
	global_load_dwordx4 v[4:7], v[4:5], off offset:240
	ds_write_b128 v16, v[0:3] offset:4752
	ds_read_b128 v[0:3], v16 offset:6048
	s_waitcnt vmcnt(0) lgkmcnt(0)
	v_mul_f64 v[8:9], v[2:3], v[6:7]
	v_fma_f64 v[8:9], v[0:1], v[4:5], -v[8:9]
	v_mul_f64 v[0:1], v[0:1], v[6:7]
	v_fma_f64 v[10:11], v[2:3], v[4:5], v[0:1]
	ds_write_b128 v16, v[8:11] offset:6048
	s_waitcnt lgkmcnt(0)
	s_barrier
	ds_read_b128 v[17:20], v16
	ds_read_b128 v[21:24], v16 offset:1296
	ds_read_b128 v[25:28], v16 offset:2592
	ds_read_b128 v[29:32], v16 offset:3888
	ds_read_b128 v[33:36], v16 offset:5184
	ds_read_b128 v[37:40], v16 offset:432
	ds_read_b128 v[4:7], v16 offset:1728
	ds_read_b128 v[0:3], v16 offset:3024
	ds_read_b128 v[12:15], v16 offset:4320
	ds_read_b128 v[8:11], v16 offset:5616
	ds_read_b128 v[236:239], v16 offset:864
	ds_read_b128 v[228:231], v16 offset:2160
	ds_read_b128 v[232:235], v16 offset:3456
	ds_read_b128 v[220:223], v16 offset:4752
	ds_read_b128 v[224:227], v16 offset:6048
	s_waitcnt lgkmcnt(13)
	v_add_f64 v[41:42], v[17:18], v[21:22]
	s_waitcnt lgkmcnt(10)
	v_add_f64 v[43:44], v[23:24], -v[35:36]
	v_add_f64 v[52:53], v[27:28], -v[31:32]
	;; [unrolled: 1-line block ×4, first 2 shown]
	s_waitcnt lgkmcnt(0)
	s_barrier
	v_add_f64 v[41:42], v[41:42], v[25:26]
	v_add_f64 v[240:241], v[240:241], v[242:243]
	v_add_f64 v[242:243], v[29:30], -v[33:34]
	v_add_f64 v[41:42], v[41:42], v[29:30]
	v_add_f64 v[244:245], v[41:42], v[33:34]
	;; [unrolled: 1-line block ×3, first 2 shown]
	v_fma_f64 v[41:42], v[41:42], -0.5, v[17:18]
	v_fma_f64 v[45:46], v[43:44], s[18:19], v[41:42]
	v_fma_f64 v[41:42], v[43:44], s[6:7], v[41:42]
	;; [unrolled: 1-line block ×6, first 2 shown]
	v_add_f64 v[41:42], v[21:22], v[33:34]
	v_add_f64 v[45:46], v[25:26], -v[21:22]
	v_add_f64 v[21:22], v[21:22], -v[33:34]
	;; [unrolled: 1-line block ×3, first 2 shown]
	v_fma_f64 v[17:18], v[41:42], -0.5, v[17:18]
	v_add_f64 v[45:46], v[45:46], v[242:243]
	v_fma_f64 v[41:42], v[52:53], s[6:7], v[17:18]
	v_fma_f64 v[17:18], v[52:53], s[18:19], v[17:18]
	v_add_f64 v[52:53], v[226:227], -v[222:223]
	v_fma_f64 v[41:42], v[43:44], s[14:15], v[41:42]
	v_fma_f64 v[17:18], v[43:44], s[16:17], v[17:18]
	v_add_f64 v[43:44], v[35:36], -v[31:32]
	v_fma_f64 v[41:42], v[45:46], s[8:9], v[41:42]
	v_fma_f64 v[252:253], v[45:46], s[8:9], v[17:18]
	v_add_f64 v[17:18], v[19:20], v[23:24]
	v_add_f64 v[45:46], v[232:233], -v[220:221]
	v_add_f64 v[17:18], v[17:18], v[27:28]
	v_add_f64 v[17:18], v[17:18], v[31:32]
	;; [unrolled: 1-line block ×4, first 2 shown]
	v_fma_f64 v[17:18], v[17:18], -0.5, v[19:20]
	v_fma_f64 v[33:34], v[21:22], s[6:7], v[17:18]
	v_fma_f64 v[17:18], v[21:22], s[18:19], v[17:18]
	;; [unrolled: 1-line block ×3, first 2 shown]
	v_add_f64 v[33:34], v[23:24], -v[27:28]
	v_fma_f64 v[17:18], v[25:26], s[14:15], v[17:18]
	v_add_f64 v[33:34], v[33:34], v[43:44]
	v_fma_f64 v[242:243], v[33:34], s[8:9], v[17:18]
	v_add_f64 v[17:18], v[23:24], v[35:36]
	v_add_f64 v[23:24], v[27:28], -v[23:24]
	v_add_f64 v[27:28], v[31:32], -v[35:36]
	v_fma_f64 v[250:251], v[33:34], s[8:9], v[29:30]
	v_add_f64 v[31:32], v[12:13], -v[8:9]
	v_fma_f64 v[17:18], v[17:18], -0.5, v[19:20]
	v_add_f64 v[23:24], v[23:24], v[27:28]
	v_add_f64 v[27:28], v[8:9], -v[12:13]
	v_fma_f64 v[19:20], v[25:26], s[18:19], v[17:18]
	v_fma_f64 v[17:18], v[25:26], s[6:7], v[17:18]
	v_add_f64 v[25:26], v[4:5], -v[0:1]
	v_fma_f64 v[19:20], v[21:22], s[16:17], v[19:20]
	v_fma_f64 v[17:18], v[21:22], s[14:15], v[17:18]
	v_add_f64 v[27:28], v[25:26], v[27:28]
	v_fma_f64 v[43:44], v[23:24], s[8:9], v[19:20]
	v_fma_f64 v[254:255], v[23:24], s[8:9], v[17:18]
	v_add_f64 v[17:18], v[37:38], v[4:5]
	v_add_f64 v[19:20], v[6:7], -v[10:11]
	v_add_f64 v[23:24], v[2:3], -v[14:15]
	v_add_f64 v[17:18], v[17:18], v[0:1]
	v_add_f64 v[17:18], v[17:18], v[12:13]
	;; [unrolled: 1-line block ×4, first 2 shown]
	v_fma_f64 v[17:18], v[17:18], -0.5, v[37:38]
	v_fma_f64 v[21:22], v[19:20], s[18:19], v[17:18]
	v_fma_f64 v[17:18], v[19:20], s[6:7], v[17:18]
	;; [unrolled: 1-line block ×6, first 2 shown]
	v_add_f64 v[17:18], v[4:5], v[8:9]
	v_add_f64 v[27:28], v[0:1], -v[4:5]
	v_add_f64 v[4:5], v[4:5], -v[8:9]
	;; [unrolled: 1-line block ×4, first 2 shown]
	v_fma_f64 v[21:22], v[17:18], -0.5, v[37:38]
	v_add_f64 v[27:28], v[27:28], v[31:32]
	v_add_f64 v[37:38], v[220:221], -v[224:225]
	v_fma_f64 v[17:18], v[23:24], s[6:7], v[21:22]
	v_fma_f64 v[21:22], v[23:24], s[18:19], v[21:22]
	v_add_f64 v[23:24], v[10:11], -v[14:15]
	v_fma_f64 v[17:18], v[19:20], s[14:15], v[17:18]
	v_fma_f64 v[19:20], v[19:20], s[16:17], v[21:22]
	v_add_f64 v[12:13], v[12:13], v[23:24]
	v_fma_f64 v[17:18], v[27:28], s[8:9], v[17:18]
	v_fma_f64 v[21:22], v[27:28], s[8:9], v[19:20]
	v_add_f64 v[19:20], v[39:40], v[6:7]
	v_add_f64 v[19:20], v[19:20], v[2:3]
	;; [unrolled: 1-line block ×5, first 2 shown]
	v_add_f64 v[2:3], v[2:3], -v[6:7]
	v_fma_f64 v[19:20], v[19:20], -0.5, v[39:40]
	v_fma_f64 v[8:9], v[4:5], s[6:7], v[19:20]
	v_fma_f64 v[8:9], v[0:1], s[16:17], v[8:9]
	;; [unrolled: 1-line block ×6, first 2 shown]
	v_add_f64 v[8:9], v[6:7], v[10:11]
	v_add_f64 v[6:7], v[14:15], -v[10:11]
	v_add_f64 v[10:11], v[234:235], -v[222:223]
	;; [unrolled: 1-line block ×3, first 2 shown]
	v_fma_f64 v[8:9], v[8:9], -0.5, v[39:40]
	v_add_f64 v[2:3], v[2:3], v[6:7]
	v_add_f64 v[6:7], v[230:231], -v[226:227]
	v_add_f64 v[14:15], v[14:15], v[37:38]
	v_add_f64 v[39:40], v[228:229], -v[224:225]
	v_fma_f64 v[12:13], v[0:1], s[18:19], v[8:9]
	v_fma_f64 v[0:1], v[0:1], s[6:7], v[8:9]
	v_add_f64 v[8:9], v[228:229], -v[232:233]
	v_fma_f64 v[12:13], v[4:5], s[16:17], v[12:13]
	v_fma_f64 v[0:1], v[4:5], s[14:15], v[0:1]
	;; [unrolled: 1-line block ×4, first 2 shown]
	v_add_f64 v[2:3], v[232:233], v[220:221]
	v_add_f64 v[12:13], v[224:225], -v[220:221]
	v_add_f64 v[0:1], v[236:237], v[228:229]
	v_fma_f64 v[2:3], v[2:3], -0.5, v[236:237]
	v_add_f64 v[8:9], v[8:9], v[12:13]
	v_add_f64 v[0:1], v[0:1], v[232:233]
	v_fma_f64 v[4:5], v[6:7], s[18:19], v[2:3]
	v_fma_f64 v[2:3], v[6:7], s[6:7], v[2:3]
	v_add_f64 v[0:1], v[0:1], v[220:221]
	v_add_f64 v[220:221], v[234:235], -v[230:231]
	v_fma_f64 v[4:5], v[10:11], s[14:15], v[4:5]
	v_fma_f64 v[2:3], v[10:11], s[16:17], v[2:3]
	v_add_f64 v[0:1], v[0:1], v[224:225]
	v_fma_f64 v[4:5], v[8:9], s[8:9], v[4:5]
	v_fma_f64 v[8:9], v[8:9], s[8:9], v[2:3]
	v_add_f64 v[2:3], v[228:229], v[224:225]
	v_fma_f64 v[2:3], v[2:3], -0.5, v[236:237]
	v_fma_f64 v[12:13], v[10:11], s[6:7], v[2:3]
	v_fma_f64 v[2:3], v[10:11], s[18:19], v[2:3]
	;; [unrolled: 1-line block ×4, first 2 shown]
	v_add_f64 v[6:7], v[234:235], v[222:223]
	v_fma_f64 v[12:13], v[14:15], s[8:9], v[12:13]
	v_fma_f64 v[37:38], v[14:15], s[8:9], v[2:3]
	v_fma_f64 v[10:11], v[6:7], -0.5, v[238:239]
	v_add_f64 v[14:15], v[230:231], -v[234:235]
	v_add_f64 v[2:3], v[238:239], v[230:231]
	v_fma_f64 v[6:7], v[39:40], s[6:7], v[10:11]
	v_fma_f64 v[10:11], v[39:40], s[18:19], v[10:11]
	v_add_f64 v[14:15], v[14:15], v[52:53]
	v_add_f64 v[2:3], v[2:3], v[234:235]
	v_fma_f64 v[6:7], v[45:46], s[16:17], v[6:7]
	v_fma_f64 v[10:11], v[45:46], s[14:15], v[10:11]
	v_add_f64 v[2:3], v[2:3], v[222:223]
	v_add_f64 v[222:223], v[222:223], -v[226:227]
	v_fma_f64 v[6:7], v[14:15], s[8:9], v[6:7]
	v_fma_f64 v[10:11], v[14:15], s[8:9], v[10:11]
	v_add_f64 v[14:15], v[230:231], v[226:227]
	v_add_f64 v[2:3], v[2:3], v[226:227]
	;; [unrolled: 1-line block ×3, first 2 shown]
	v_fma_f64 v[52:53], v[14:15], -0.5, v[238:239]
	v_fma_f64 v[14:15], v[45:46], s[18:19], v[52:53]
	v_fma_f64 v[45:46], v[45:46], s[6:7], v[52:53]
	;; [unrolled: 1-line block ×6, first 2 shown]
	ds_write_b128 v48, v[244:247]
	ds_write_b128 v48, v[248:251] offset:16
	ds_write_b128 v48, v[41:44] offset:32
	ds_write_b128 v48, v[252:255] offset:48
	ds_write_b128 v48, v[240:243] offset:64
	ds_write_b128 v55, v[29:32]
	ds_write_b128 v55, v[25:28] offset:16
	ds_write_b128 v55, v[17:20] offset:32
	ds_write_b128 v55, v[21:24] offset:48
	ds_write_b128 v55, v[33:36] offset:64
	;; [unrolled: 5-line block ×3, first 2 shown]
	s_waitcnt lgkmcnt(0)
	s_barrier
	ds_read_b128 v[0:3], v16
	ds_read_b128 v[4:7], v16 offset:2160
	ds_read_b128 v[8:11], v16 offset:4320
	;; [unrolled: 1-line block ×14, first 2 shown]
	s_waitcnt lgkmcnt(13)
	v_mul_f64 v[45:46], v[66:67], v[6:7]
	s_waitcnt lgkmcnt(0)
	s_barrier
	v_fma_f64 v[45:46], v[64:65], v[4:5], v[45:46]
	v_mul_f64 v[4:5], v[66:67], v[4:5]
	v_fma_f64 v[47:48], v[64:65], v[6:7], -v[4:5]
	v_mul_f64 v[4:5], v[62:63], v[10:11]
	v_fma_f64 v[51:52], v[60:61], v[8:9], v[4:5]
	v_mul_f64 v[4:5], v[62:63], v[8:9]
	v_add_f64 v[6:7], v[45:46], v[51:52]
	v_fma_f64 v[10:11], v[60:61], v[10:11], -v[4:5]
	v_mul_f64 v[4:5], v[74:75], v[19:20]
	v_fma_f64 v[6:7], v[6:7], -0.5, v[0:1]
	v_add_f64 v[8:9], v[47:48], -v[10:11]
	v_fma_f64 v[60:61], v[72:73], v[17:18], v[4:5]
	v_mul_f64 v[4:5], v[74:75], v[17:18]
	v_add_f64 v[17:18], v[45:46], -v[51:52]
	v_fma_f64 v[62:63], v[72:73], v[19:20], -v[4:5]
	v_mul_f64 v[4:5], v[70:71], v[23:24]
	v_fma_f64 v[64:65], v[68:69], v[21:22], v[4:5]
	v_mul_f64 v[4:5], v[70:71], v[21:22]
	v_add_f64 v[19:20], v[60:61], v[64:65]
	v_fma_f64 v[23:24], v[68:69], v[23:24], -v[4:5]
	v_mul_f64 v[4:5], v[82:83], v[31:32]
	v_fma_f64 v[19:20], v[19:20], -0.5, v[12:13]
	v_add_f64 v[21:22], v[62:63], -v[23:24]
	v_fma_f64 v[66:67], v[80:81], v[29:30], v[4:5]
	v_mul_f64 v[4:5], v[82:83], v[29:30]
	v_add_f64 v[29:30], v[60:61], -v[64:65]
	;; [unrolled: 12-line block ×3, first 2 shown]
	v_fma_f64 v[74:75], v[88:89], v[43:44], -v[4:5]
	v_mul_f64 v[4:5], v[86:87], v[222:223]
	v_fma_f64 v[76:77], v[84:85], v[220:221], v[4:5]
	v_mul_f64 v[4:5], v[86:87], v[220:221]
	v_add_f64 v[43:44], v[72:73], v[76:77]
	v_fma_f64 v[78:79], v[84:85], v[222:223], -v[4:5]
	v_mul_f64 v[4:5], v[98:99], v[230:231]
	v_fma_f64 v[43:44], v[43:44], -0.5, v[37:38]
	v_fma_f64 v[80:81], v[96:97], v[228:229], v[4:5]
	v_mul_f64 v[4:5], v[98:99], v[228:229]
	v_fma_f64 v[82:83], v[96:97], v[230:231], -v[4:5]
	v_mul_f64 v[4:5], v[94:95], v[234:235]
	v_fma_f64 v[84:85], v[92:93], v[232:233], v[4:5]
	v_mul_f64 v[4:5], v[94:95], v[232:233]
	v_fma_f64 v[86:87], v[92:93], v[234:235], -v[4:5]
	v_add_f64 v[4:5], v[0:1], v[45:46]
	v_fma_f64 v[0:1], v[8:9], s[2:3], v[6:7]
	v_fma_f64 v[8:9], v[8:9], s[4:5], v[6:7]
	v_add_f64 v[6:7], v[2:3], v[47:48]
	v_add_f64 v[45:46], v[74:75], -v[78:79]
	v_add_f64 v[4:5], v[4:5], v[51:52]
	v_add_f64 v[6:7], v[6:7], v[10:11]
	;; [unrolled: 1-line block ×3, first 2 shown]
	v_add_f64 v[47:48], v[72:73], -v[76:77]
	v_fma_f64 v[10:11], v[10:11], -0.5, v[2:3]
	v_fma_f64 v[2:3], v[17:18], s[4:5], v[10:11]
	v_fma_f64 v[10:11], v[17:18], s[2:3], v[10:11]
	v_add_f64 v[17:18], v[12:13], v[60:61]
	v_fma_f64 v[12:13], v[21:22], s[2:3], v[19:20]
	v_fma_f64 v[21:22], v[21:22], s[4:5], v[19:20]
	v_add_f64 v[19:20], v[14:15], v[62:63]
	v_fma_f64 v[60:61], v[45:46], s[4:5], v[43:44]
	v_add_f64 v[17:18], v[17:18], v[64:65]
	v_add_f64 v[19:20], v[19:20], v[23:24]
	;; [unrolled: 1-line block ×3, first 2 shown]
	v_fma_f64 v[23:24], v[23:24], -0.5, v[14:15]
	v_fma_f64 v[14:15], v[29:30], s[4:5], v[23:24]
	v_fma_f64 v[23:24], v[29:30], s[2:3], v[23:24]
	v_add_f64 v[29:30], v[25:26], v[66:67]
	v_fma_f64 v[25:26], v[33:34], s[2:3], v[31:32]
	v_fma_f64 v[33:34], v[33:34], s[4:5], v[31:32]
	v_add_f64 v[31:32], v[27:28], v[68:69]
	v_add_f64 v[29:30], v[29:30], v[70:71]
	;; [unrolled: 1-line block ×4, first 2 shown]
	v_fma_f64 v[35:36], v[35:36], -0.5, v[27:28]
	v_fma_f64 v[27:28], v[41:42], s[4:5], v[35:36]
	v_fma_f64 v[35:36], v[41:42], s[2:3], v[35:36]
	v_add_f64 v[41:42], v[37:38], v[72:73]
	v_fma_f64 v[37:38], v[45:46], s[2:3], v[43:44]
	v_add_f64 v[45:46], v[74:75], v[78:79]
	v_add_f64 v[43:44], v[39:40], v[74:75]
	;; [unrolled: 1-line block ×3, first 2 shown]
	v_fma_f64 v[45:46], v[45:46], -0.5, v[39:40]
	v_add_f64 v[43:44], v[43:44], v[78:79]
	v_fma_f64 v[39:40], v[47:48], s[4:5], v[45:46]
	v_fma_f64 v[62:63], v[47:48], s[2:3], v[45:46]
	v_add_f64 v[45:46], v[224:225], v[80:81]
	v_add_f64 v[47:48], v[82:83], -v[86:87]
	v_add_f64 v[64:65], v[45:46], v[84:85]
	v_add_f64 v[45:46], v[80:81], v[84:85]
	v_fma_f64 v[45:46], v[45:46], -0.5, v[224:225]
	v_fma_f64 v[68:69], v[47:48], s[2:3], v[45:46]
	v_fma_f64 v[72:73], v[47:48], s[4:5], v[45:46]
	v_add_f64 v[45:46], v[226:227], v[82:83]
	v_add_f64 v[47:48], v[80:81], -v[84:85]
	v_add_f64 v[66:67], v[45:46], v[86:87]
	v_add_f64 v[45:46], v[82:83], v[86:87]
	v_fma_f64 v[45:46], v[45:46], -0.5, v[226:227]
	v_fma_f64 v[70:71], v[47:48], s[4:5], v[45:46]
	v_fma_f64 v[74:75], v[47:48], s[2:3], v[45:46]
	buffer_load_dword v45, off, s[24:27], 0 offset:256 ; 4-byte Folded Reload
	s_waitcnt vmcnt(0)
	ds_write_b128 v45, v[4:7]
	ds_write_b128 v45, v[0:3] offset:80
	ds_write_b128 v45, v[8:11] offset:160
	buffer_load_dword v0, off, s[24:27], 0 offset:240 ; 4-byte Folded Reload
	s_waitcnt vmcnt(0)
	ds_write_b128 v0, v[17:20]
	ds_write_b128 v0, v[12:15] offset:80
	ds_write_b128 v0, v[21:24] offset:160
	;; [unrolled: 5-line block ×5, first 2 shown]
	s_waitcnt lgkmcnt(0)
	s_barrier
	ds_read_b128 v[4:7], v16
	ds_read_b128 v[8:11], v16 offset:2160
	ds_read_b128 v[12:15], v16 offset:4320
	;; [unrolled: 1-line block ×14, first 2 shown]
	s_waitcnt lgkmcnt(13)
	v_mul_f64 v[45:46], v[106:107], v[10:11]
	s_waitcnt lgkmcnt(0)
	s_barrier
	v_fma_f64 v[45:46], v[104:105], v[8:9], v[45:46]
	v_mul_f64 v[8:9], v[106:107], v[8:9]
	v_fma_f64 v[47:48], v[104:105], v[10:11], -v[8:9]
	v_mul_f64 v[8:9], v[102:103], v[14:15]
	v_fma_f64 v[51:52], v[100:101], v[12:13], v[8:9]
	v_mul_f64 v[8:9], v[102:103], v[12:13]
	v_add_f64 v[10:11], v[45:46], v[51:52]
	v_fma_f64 v[14:15], v[100:101], v[14:15], -v[8:9]
	v_mul_f64 v[8:9], v[114:115], v[23:24]
	v_fma_f64 v[10:11], v[10:11], -0.5, v[4:5]
	v_add_f64 v[12:13], v[47:48], -v[14:15]
	v_fma_f64 v[76:77], v[112:113], v[21:22], v[8:9]
	v_mul_f64 v[8:9], v[114:115], v[21:22]
	v_add_f64 v[21:22], v[45:46], -v[51:52]
	v_fma_f64 v[78:79], v[112:113], v[23:24], -v[8:9]
	v_mul_f64 v[8:9], v[110:111], v[27:28]
	v_fma_f64 v[80:81], v[108:109], v[25:26], v[8:9]
	v_mul_f64 v[8:9], v[110:111], v[25:26]
	v_add_f64 v[23:24], v[76:77], v[80:81]
	v_fma_f64 v[27:28], v[108:109], v[27:28], -v[8:9]
	v_mul_f64 v[8:9], v[122:123], v[35:36]
	v_fma_f64 v[23:24], v[23:24], -0.5, v[17:18]
	v_add_f64 v[25:26], v[78:79], -v[27:28]
	v_fma_f64 v[82:83], v[120:121], v[33:34], v[8:9]
	v_mul_f64 v[8:9], v[122:123], v[33:34]
	v_add_f64 v[33:34], v[76:77], -v[80:81]
	v_fma_f64 v[84:85], v[120:121], v[35:36], -v[8:9]
	v_mul_f64 v[8:9], v[118:119], v[39:40]
	v_fma_f64 v[86:87], v[116:117], v[37:38], v[8:9]
	v_mul_f64 v[8:9], v[118:119], v[37:38]
	v_add_f64 v[35:36], v[82:83], v[86:87]
	v_fma_f64 v[39:40], v[116:117], v[39:40], -v[8:9]
	v_mul_f64 v[8:9], v[130:131], v[62:63]
	v_fma_f64 v[35:36], v[35:36], -0.5, v[29:30]
	v_add_f64 v[37:38], v[84:85], -v[39:40]
	v_fma_f64 v[88:89], v[128:129], v[60:61], v[8:9]
	v_mul_f64 v[8:9], v[130:131], v[60:61]
	v_fma_f64 v[90:91], v[128:129], v[62:63], -v[8:9]
	v_mul_f64 v[8:9], v[126:127], v[66:67]
	v_fma_f64 v[92:93], v[124:125], v[64:65], v[8:9]
	v_mul_f64 v[8:9], v[126:127], v[64:65]
	v_fma_f64 v[66:67], v[124:125], v[66:67], -v[8:9]
	v_mul_f64 v[8:9], v[138:139], v[70:71]
	;; [unrolled: 4-line block ×3, first 2 shown]
	v_fma_f64 v[98:99], v[132:133], v[72:73], v[8:9]
	v_mul_f64 v[8:9], v[134:135], v[72:73]
	v_fma_f64 v[74:75], v[132:133], v[74:75], -v[8:9]
	v_add_f64 v[8:9], v[4:5], v[45:46]
	v_fma_f64 v[4:5], v[12:13], s[2:3], v[10:11]
	v_fma_f64 v[12:13], v[12:13], s[4:5], v[10:11]
	v_add_f64 v[10:11], v[6:7], v[47:48]
	v_add_f64 v[45:46], v[82:83], -v[86:87]
	v_add_f64 v[8:9], v[8:9], v[51:52]
	v_add_f64 v[10:11], v[10:11], v[14:15]
	;; [unrolled: 1-line block ×3, first 2 shown]
	v_add_f64 v[47:48], v[90:91], -v[66:67]
	v_fma_f64 v[14:15], v[14:15], -0.5, v[6:7]
	v_fma_f64 v[6:7], v[21:22], s[4:5], v[14:15]
	v_fma_f64 v[14:15], v[21:22], s[2:3], v[14:15]
	v_add_f64 v[21:22], v[17:18], v[76:77]
	v_fma_f64 v[17:18], v[25:26], s[2:3], v[23:24]
	v_fma_f64 v[25:26], v[25:26], s[4:5], v[23:24]
	v_add_f64 v[23:24], v[19:20], v[78:79]
	v_add_f64 v[21:22], v[21:22], v[80:81]
	;; [unrolled: 1-line block ×4, first 2 shown]
	v_fma_f64 v[27:28], v[27:28], -0.5, v[19:20]
	v_fma_f64 v[19:20], v[33:34], s[4:5], v[27:28]
	v_fma_f64 v[27:28], v[33:34], s[2:3], v[27:28]
	v_add_f64 v[33:34], v[29:30], v[82:83]
	v_fma_f64 v[29:30], v[37:38], s[2:3], v[35:36]
	v_fma_f64 v[37:38], v[37:38], s[4:5], v[35:36]
	v_add_f64 v[35:36], v[31:32], v[84:85]
	v_add_f64 v[33:34], v[33:34], v[86:87]
	;; [unrolled: 1-line block ×4, first 2 shown]
	v_fma_f64 v[39:40], v[39:40], -0.5, v[31:32]
	v_fma_f64 v[31:32], v[45:46], s[4:5], v[39:40]
	v_fma_f64 v[39:40], v[45:46], s[2:3], v[39:40]
	v_add_f64 v[45:46], v[41:42], v[88:89]
	v_add_f64 v[60:61], v[45:46], v[92:93]
	;; [unrolled: 1-line block ×3, first 2 shown]
	v_fma_f64 v[45:46], v[45:46], -0.5, v[41:42]
	v_fma_f64 v[41:42], v[47:48], s[2:3], v[45:46]
	v_fma_f64 v[64:65], v[47:48], s[4:5], v[45:46]
	v_add_f64 v[45:46], v[43:44], v[90:91]
	v_add_f64 v[47:48], v[88:89], -v[92:93]
	v_add_f64 v[62:63], v[45:46], v[66:67]
	v_add_f64 v[45:46], v[90:91], v[66:67]
	v_fma_f64 v[45:46], v[45:46], -0.5, v[43:44]
	v_fma_f64 v[43:44], v[47:48], s[4:5], v[45:46]
	v_fma_f64 v[66:67], v[47:48], s[2:3], v[45:46]
	v_add_f64 v[45:46], v[0:1], v[94:95]
	v_add_f64 v[47:48], v[96:97], -v[74:75]
	v_add_f64 v[68:69], v[45:46], v[98:99]
	v_add_f64 v[45:46], v[94:95], v[98:99]
	;; [unrolled: 7-line block ×3, first 2 shown]
	v_fma_f64 v[45:46], v[45:46], -0.5, v[2:3]
	v_fma_f64 v[2:3], v[47:48], s[4:5], v[45:46]
	v_fma_f64 v[74:75], v[47:48], s[2:3], v[45:46]
	buffer_load_dword v45, off, s[24:27], 0 offset:260 ; 4-byte Folded Reload
	s_waitcnt vmcnt(0)
	ds_write_b128 v45, v[8:11]
	ds_write_b128 v45, v[4:7] offset:240
	ds_write_b128 v45, v[12:15] offset:480
	buffer_load_dword v4, off, s[24:27], 0 offset:264 ; 4-byte Folded Reload
	s_waitcnt vmcnt(0)
	ds_write_b128 v4, v[21:24]
	ds_write_b128 v4, v[17:20] offset:240
	ds_write_b128 v4, v[25:28] offset:480
	;; [unrolled: 5-line block ×5, first 2 shown]
	s_waitcnt lgkmcnt(0)
	s_barrier
	ds_read_b128 v[0:3], v16
	ds_read_b128 v[4:7], v16 offset:2160
	ds_read_b128 v[8:11], v16 offset:4320
	;; [unrolled: 1-line block ×14, first 2 shown]
	s_waitcnt lgkmcnt(13)
	v_mul_f64 v[45:46], v[150:151], v[6:7]
	s_waitcnt lgkmcnt(0)
	s_barrier
	v_fma_f64 v[45:46], v[148:149], v[4:5], v[45:46]
	v_mul_f64 v[4:5], v[150:151], v[4:5]
	v_fma_f64 v[47:48], v[148:149], v[6:7], -v[4:5]
	v_mul_f64 v[4:5], v[146:147], v[10:11]
	v_fma_f64 v[51:52], v[144:145], v[8:9], v[4:5]
	v_mul_f64 v[4:5], v[146:147], v[8:9]
	v_add_f64 v[6:7], v[45:46], v[51:52]
	v_fma_f64 v[10:11], v[144:145], v[10:11], -v[4:5]
	v_mul_f64 v[4:5], v[162:163], v[19:20]
	v_fma_f64 v[6:7], v[6:7], -0.5, v[0:1]
	v_add_f64 v[8:9], v[47:48], -v[10:11]
	v_fma_f64 v[76:77], v[160:161], v[17:18], v[4:5]
	v_mul_f64 v[4:5], v[162:163], v[17:18]
	v_add_f64 v[17:18], v[45:46], -v[51:52]
	v_fma_f64 v[78:79], v[160:161], v[19:20], -v[4:5]
	v_mul_f64 v[4:5], v[158:159], v[23:24]
	v_fma_f64 v[80:81], v[156:157], v[21:22], v[4:5]
	v_mul_f64 v[4:5], v[158:159], v[21:22]
	v_add_f64 v[19:20], v[76:77], v[80:81]
	v_fma_f64 v[23:24], v[156:157], v[23:24], -v[4:5]
	v_mul_f64 v[4:5], v[166:167], v[31:32]
	v_fma_f64 v[19:20], v[19:20], -0.5, v[12:13]
	v_add_f64 v[21:22], v[78:79], -v[23:24]
	v_fma_f64 v[82:83], v[164:165], v[29:30], v[4:5]
	v_mul_f64 v[4:5], v[166:167], v[29:30]
	v_add_f64 v[29:30], v[76:77], -v[80:81]
	;; [unrolled: 12-line block ×3, first 2 shown]
	v_fma_f64 v[90:91], v[172:173], v[43:44], -v[4:5]
	v_mul_f64 v[4:5], v[170:171], v[62:63]
	v_fma_f64 v[92:93], v[168:169], v[60:61], v[4:5]
	v_mul_f64 v[4:5], v[170:171], v[60:61]
	v_add_f64 v[43:44], v[88:89], v[92:93]
	v_fma_f64 v[62:63], v[168:169], v[62:63], -v[4:5]
	v_mul_f64 v[4:5], v[198:199], v[70:71]
	v_fma_f64 v[43:44], v[43:44], -0.5, v[37:38]
	v_fma_f64 v[94:95], v[196:197], v[68:69], v[4:5]
	v_mul_f64 v[4:5], v[198:199], v[68:69]
	v_fma_f64 v[96:97], v[196:197], v[70:71], -v[4:5]
	v_mul_f64 v[4:5], v[190:191], v[74:75]
	v_fma_f64 v[98:99], v[188:189], v[72:73], v[4:5]
	v_mul_f64 v[4:5], v[190:191], v[72:73]
	v_fma_f64 v[74:75], v[188:189], v[74:75], -v[4:5]
	v_add_f64 v[4:5], v[0:1], v[45:46]
	v_fma_f64 v[0:1], v[8:9], s[2:3], v[6:7]
	v_fma_f64 v[8:9], v[8:9], s[4:5], v[6:7]
	v_add_f64 v[6:7], v[2:3], v[47:48]
	v_add_f64 v[45:46], v[90:91], -v[62:63]
	v_add_f64 v[4:5], v[4:5], v[51:52]
	v_add_f64 v[6:7], v[6:7], v[10:11]
	;; [unrolled: 1-line block ×3, first 2 shown]
	v_fma_f64 v[60:61], v[45:46], s[4:5], v[43:44]
	v_add_f64 v[47:48], v[88:89], -v[92:93]
	v_fma_f64 v[10:11], v[10:11], -0.5, v[2:3]
	v_fma_f64 v[2:3], v[17:18], s[4:5], v[10:11]
	v_fma_f64 v[10:11], v[17:18], s[2:3], v[10:11]
	v_add_f64 v[17:18], v[12:13], v[76:77]
	v_fma_f64 v[12:13], v[21:22], s[2:3], v[19:20]
	v_fma_f64 v[21:22], v[21:22], s[4:5], v[19:20]
	v_add_f64 v[19:20], v[14:15], v[78:79]
	ds_write_b128 v16, v[4:7]
	ds_write_b128 v16, v[0:3] offset:720
	ds_write_b128 v16, v[8:11] offset:1440
	buffer_load_dword v0, off, s[24:27], 0 offset:280 ; 4-byte Folded Reload
	v_add_f64 v[17:18], v[17:18], v[80:81]
	v_add_f64 v[19:20], v[19:20], v[23:24]
	;; [unrolled: 1-line block ×3, first 2 shown]
	v_fma_f64 v[23:24], v[23:24], -0.5, v[14:15]
	v_fma_f64 v[14:15], v[29:30], s[4:5], v[23:24]
	v_fma_f64 v[23:24], v[29:30], s[2:3], v[23:24]
	v_add_f64 v[29:30], v[25:26], v[82:83]
	v_fma_f64 v[25:26], v[33:34], s[2:3], v[31:32]
	v_fma_f64 v[33:34], v[33:34], s[4:5], v[31:32]
	v_add_f64 v[31:32], v[27:28], v[84:85]
	v_add_f64 v[29:30], v[29:30], v[86:87]
	;; [unrolled: 1-line block ×4, first 2 shown]
	v_fma_f64 v[35:36], v[35:36], -0.5, v[27:28]
	v_fma_f64 v[27:28], v[41:42], s[4:5], v[35:36]
	v_fma_f64 v[35:36], v[41:42], s[2:3], v[35:36]
	v_add_f64 v[41:42], v[37:38], v[88:89]
	v_fma_f64 v[37:38], v[45:46], s[2:3], v[43:44]
	v_add_f64 v[45:46], v[90:91], v[62:63]
	v_add_f64 v[43:44], v[39:40], v[90:91]
	;; [unrolled: 1-line block ×3, first 2 shown]
	v_fma_f64 v[45:46], v[45:46], -0.5, v[39:40]
	v_add_f64 v[43:44], v[43:44], v[62:63]
	v_fma_f64 v[39:40], v[47:48], s[4:5], v[45:46]
	v_fma_f64 v[62:63], v[47:48], s[2:3], v[45:46]
	v_add_f64 v[45:46], v[64:65], v[94:95]
	v_add_f64 v[47:48], v[96:97], -v[74:75]
	v_add_f64 v[68:69], v[45:46], v[98:99]
	v_add_f64 v[45:46], v[94:95], v[98:99]
	v_fma_f64 v[45:46], v[45:46], -0.5, v[64:65]
	v_fma_f64 v[64:65], v[47:48], s[2:3], v[45:46]
	v_fma_f64 v[72:73], v[47:48], s[4:5], v[45:46]
	v_add_f64 v[45:46], v[66:67], v[96:97]
	v_add_f64 v[47:48], v[94:95], -v[98:99]
	v_add_f64 v[70:71], v[45:46], v[74:75]
	v_add_f64 v[45:46], v[96:97], v[74:75]
	v_fma_f64 v[45:46], v[45:46], -0.5, v[66:67]
	v_fma_f64 v[66:67], v[47:48], s[4:5], v[45:46]
	v_fma_f64 v[74:75], v[47:48], s[2:3], v[45:46]
	s_waitcnt vmcnt(0)
	ds_write_b128 v0, v[17:20]
	ds_write_b128 v0, v[12:15] offset:720
	ds_write_b128 v0, v[21:24] offset:1440
	;; [unrolled: 1-line block ×5, first 2 shown]
	ds_write_b128 v50, v[41:44]
	ds_write_b128 v50, v[37:40] offset:720
	ds_write_b128 v50, v[60:63] offset:1440
	;; [unrolled: 1-line block ×5, first 2 shown]
	s_waitcnt lgkmcnt(0)
	s_barrier
	ds_read_b128 v[0:3], v16
	ds_read_b128 v[4:7], v16 offset:2160
	ds_read_b128 v[8:11], v16 offset:4320
	;; [unrolled: 1-line block ×14, first 2 shown]
	s_waitcnt lgkmcnt(13)
	v_mul_f64 v[50:51], v[178:179], v[6:7]
	v_fma_f64 v[50:51], v[176:177], v[4:5], v[50:51]
	v_mul_f64 v[4:5], v[178:179], v[4:5]
	v_fma_f64 v[52:53], v[176:177], v[6:7], -v[4:5]
	s_waitcnt lgkmcnt(12)
	v_mul_f64 v[4:5], v[142:143], v[10:11]
	v_fma_f64 v[72:73], v[140:141], v[8:9], v[4:5]
	v_mul_f64 v[4:5], v[142:143], v[8:9]
	v_add_f64 v[6:7], v[50:51], v[72:73]
	v_fma_f64 v[10:11], v[140:141], v[10:11], -v[4:5]
	s_waitcnt lgkmcnt(10)
	v_mul_f64 v[4:5], v[186:187], v[19:20]
	v_fma_f64 v[6:7], v[6:7], -0.5, v[0:1]
	v_add_f64 v[8:9], v[52:53], -v[10:11]
	v_fma_f64 v[74:75], v[184:185], v[17:18], v[4:5]
	v_mul_f64 v[4:5], v[186:187], v[17:18]
	v_add_f64 v[17:18], v[50:51], -v[72:73]
	v_fma_f64 v[76:77], v[184:185], v[19:20], -v[4:5]
	s_waitcnt lgkmcnt(9)
	v_mul_f64 v[4:5], v[182:183], v[23:24]
	v_fma_f64 v[78:79], v[180:181], v[21:22], v[4:5]
	v_mul_f64 v[4:5], v[182:183], v[21:22]
	v_add_f64 v[19:20], v[74:75], v[78:79]
	v_fma_f64 v[23:24], v[180:181], v[23:24], -v[4:5]
	s_waitcnt lgkmcnt(7)
	v_mul_f64 v[4:5], v[206:207], v[31:32]
	v_fma_f64 v[19:20], v[19:20], -0.5, v[12:13]
	v_add_f64 v[21:22], v[76:77], -v[23:24]
	v_fma_f64 v[80:81], v[204:205], v[29:30], v[4:5]
	v_mul_f64 v[4:5], v[206:207], v[29:30]
	v_add_f64 v[29:30], v[74:75], -v[78:79]
	;; [unrolled: 14-line block ×3, first 2 shown]
	v_fma_f64 v[88:89], v[212:213], v[43:44], -v[4:5]
	s_waitcnt lgkmcnt(3)
	v_mul_f64 v[4:5], v[202:203], v[48:49]
	v_fma_f64 v[90:91], v[200:201], v[46:47], v[4:5]
	v_mul_f64 v[4:5], v[202:203], v[46:47]
	v_add_f64 v[43:44], v[86:87], v[90:91]
	v_fma_f64 v[48:49], v[200:201], v[48:49], -v[4:5]
	s_waitcnt lgkmcnt(1)
	v_mul_f64 v[4:5], v[218:219], v[66:67]
	v_fma_f64 v[43:44], v[43:44], -0.5, v[37:38]
	v_add_f64 v[45:46], v[88:89], -v[48:49]
	v_fma_f64 v[92:93], v[216:217], v[64:65], v[4:5]
	v_mul_f64 v[4:5], v[218:219], v[64:65]
	v_fma_f64 v[94:95], v[216:217], v[66:67], -v[4:5]
	s_waitcnt lgkmcnt(0)
	v_mul_f64 v[4:5], v[210:211], v[70:71]
	v_fma_f64 v[96:97], v[208:209], v[68:69], v[4:5]
	v_mul_f64 v[4:5], v[210:211], v[68:69]
	v_fma_f64 v[70:71], v[208:209], v[70:71], -v[4:5]
	v_add_f64 v[4:5], v[0:1], v[50:51]
	v_fma_f64 v[0:1], v[8:9], s[2:3], v[6:7]
	v_fma_f64 v[8:9], v[8:9], s[4:5], v[6:7]
	v_add_f64 v[6:7], v[2:3], v[52:53]
	v_add_f64 v[50:51], v[86:87], -v[90:91]
	v_add_f64 v[4:5], v[4:5], v[72:73]
	v_add_f64 v[6:7], v[6:7], v[10:11]
	;; [unrolled: 1-line block ×3, first 2 shown]
	v_add_f64 v[52:53], v[94:95], -v[70:71]
	v_fma_f64 v[10:11], v[10:11], -0.5, v[2:3]
	v_fma_f64 v[2:3], v[17:18], s[4:5], v[10:11]
	v_fma_f64 v[10:11], v[17:18], s[2:3], v[10:11]
	v_add_f64 v[17:18], v[12:13], v[74:75]
	v_fma_f64 v[12:13], v[21:22], s[2:3], v[19:20]
	v_fma_f64 v[21:22], v[21:22], s[4:5], v[19:20]
	v_add_f64 v[19:20], v[14:15], v[76:77]
	v_add_f64 v[17:18], v[17:18], v[78:79]
	v_add_f64 v[19:20], v[19:20], v[23:24]
	v_add_f64 v[23:24], v[76:77], v[23:24]
	v_fma_f64 v[23:24], v[23:24], -0.5, v[14:15]
	v_fma_f64 v[14:15], v[29:30], s[4:5], v[23:24]
	v_fma_f64 v[23:24], v[29:30], s[2:3], v[23:24]
	v_add_f64 v[29:30], v[25:26], v[80:81]
	v_fma_f64 v[25:26], v[33:34], s[2:3], v[31:32]
	v_fma_f64 v[33:34], v[33:34], s[4:5], v[31:32]
	v_add_f64 v[31:32], v[27:28], v[82:83]
	v_add_f64 v[29:30], v[29:30], v[84:85]
	v_add_f64 v[31:32], v[31:32], v[35:36]
	v_add_f64 v[35:36], v[82:83], v[35:36]
	;; [unrolled: 10-line block ×3, first 2 shown]
	v_fma_f64 v[48:49], v[48:49], -0.5, v[39:40]
	v_fma_f64 v[39:40], v[50:51], s[4:5], v[48:49]
	v_fma_f64 v[48:49], v[50:51], s[2:3], v[48:49]
	v_add_f64 v[50:51], v[60:61], v[92:93]
	v_add_f64 v[64:65], v[50:51], v[96:97]
	;; [unrolled: 1-line block ×3, first 2 shown]
	v_fma_f64 v[50:51], v[50:51], -0.5, v[60:61]
	v_fma_f64 v[60:61], v[52:53], s[2:3], v[50:51]
	v_fma_f64 v[68:69], v[52:53], s[4:5], v[50:51]
	v_add_f64 v[50:51], v[62:63], v[94:95]
	v_add_f64 v[52:53], v[92:93], -v[96:97]
	v_add_f64 v[66:67], v[50:51], v[70:71]
	v_add_f64 v[50:51], v[94:95], v[70:71]
	v_fma_f64 v[50:51], v[50:51], -0.5, v[62:63]
	v_fma_f64 v[62:63], v[52:53], s[4:5], v[50:51]
	v_fma_f64 v[70:71], v[52:53], s[2:3], v[50:51]
	ds_write_b128 v16, v[4:7]
	ds_write_b128 v16, v[0:3] offset:2160
	ds_write_b128 v16, v[8:11] offset:4320
	;; [unrolled: 1-line block ×14, first 2 shown]
	s_waitcnt lgkmcnt(0)
	s_barrier
	ds_read_b128 v[0:3], v16
	buffer_load_dword v6, off, s[24:27], 0 offset:168 ; 4-byte Folded Reload
	buffer_load_dword v7, off, s[24:27], 0 offset:172 ; 4-byte Folded Reload
	buffer_load_dword v8, off, s[24:27], 0 offset:176 ; 4-byte Folded Reload
	buffer_load_dword v9, off, s[24:27], 0 offset:180 ; 4-byte Folded Reload
	s_mov_b32 s2, 0x30abee4d
	s_mov_b32 s3, 0x3f643a27
	s_waitcnt vmcnt(0) lgkmcnt(0)
	v_mul_f64 v[4:5], v[8:9], v[2:3]
	v_fma_f64 v[4:5], v[6:7], v[0:1], v[4:5]
	v_mul_f64 v[0:1], v[8:9], v[0:1]
	v_mov_b32_e32 v8, s13
	v_mul_f64 v[4:5], v[4:5], s[2:3]
	v_fma_f64 v[0:1], v[6:7], v[2:3], -v[0:1]
	v_mul_f64 v[6:7], v[0:1], s[2:3]
	v_mad_u64_u32 v[0:1], s[4:5], s0, v54, 0
	v_mad_u64_u32 v[1:2], s[4:5], s1, v54, v[1:2]
	buffer_load_dword v2, off, s[24:27], 0 offset:48 ; 4-byte Folded Reload
	buffer_load_dword v3, off, s[24:27], 0 offset:52 ; 4-byte Folded Reload
	s_mul_i32 s4, s1, 0x510
	v_lshlrev_b64 v[0:1], 4, v[0:1]
	s_mul_hi_u32 s5, s0, 0x510
	s_add_i32 s4, s5, s4
	s_mul_i32 s5, s0, 0x510
	s_mulk_i32 s1, 0xed70
	s_sub_i32 s1, s1, s0
	s_waitcnt vmcnt(0)
	v_lshlrev_b64 v[2:3], 4, v[2:3]
	v_add_co_u32_e32 v2, vcc, s12, v2
	v_addc_co_u32_e32 v3, vcc, v8, v3, vcc
	v_add_co_u32_e32 v8, vcc, v2, v0
	v_addc_co_u32_e32 v9, vcc, v3, v1, vcc
	global_store_dwordx4 v[8:9], v[4:7], off
	ds_read_b128 v[0:3], v16 offset:1296
	buffer_load_dword v10, off, s[24:27], 0 offset:184 ; 4-byte Folded Reload
	buffer_load_dword v11, off, s[24:27], 0 offset:188 ; 4-byte Folded Reload
	buffer_load_dword v12, off, s[24:27], 0 offset:192 ; 4-byte Folded Reload
	buffer_load_dword v13, off, s[24:27], 0 offset:196 ; 4-byte Folded Reload
	v_add_co_u32_e32 v8, vcc, s5, v8
	s_waitcnt vmcnt(0) lgkmcnt(0)
	v_mul_f64 v[4:5], v[12:13], v[2:3]
	v_fma_f64 v[4:5], v[10:11], v[0:1], v[4:5]
	v_mul_f64 v[0:1], v[12:13], v[0:1]
	v_mul_f64 v[4:5], v[4:5], s[2:3]
	v_fma_f64 v[0:1], v[10:11], v[2:3], -v[0:1]
	v_mul_f64 v[6:7], v[0:1], s[2:3]
	v_mov_b32_e32 v0, s4
	v_addc_co_u32_e32 v9, vcc, v9, v0, vcc
	ds_read_b128 v[0:3], v16 offset:2592
	global_store_dwordx4 v[8:9], v[4:7], off
	buffer_load_dword v10, off, s[24:27], 0 offset:200 ; 4-byte Folded Reload
	buffer_load_dword v11, off, s[24:27], 0 offset:204 ; 4-byte Folded Reload
	buffer_load_dword v12, off, s[24:27], 0 offset:208 ; 4-byte Folded Reload
	buffer_load_dword v13, off, s[24:27], 0 offset:212 ; 4-byte Folded Reload
	v_add_co_u32_e32 v8, vcc, s5, v8
	s_waitcnt vmcnt(0) lgkmcnt(0)
	v_mul_f64 v[4:5], v[12:13], v[2:3]
	v_fma_f64 v[4:5], v[10:11], v[0:1], v[4:5]
	v_mul_f64 v[0:1], v[12:13], v[0:1]
	v_mul_f64 v[4:5], v[4:5], s[2:3]
	v_fma_f64 v[0:1], v[10:11], v[2:3], -v[0:1]
	v_mul_f64 v[6:7], v[0:1], s[2:3]
	v_mov_b32_e32 v0, s4
	v_addc_co_u32_e32 v9, vcc, v9, v0, vcc
	ds_read_b128 v[0:3], v16 offset:3888
	global_store_dwordx4 v[8:9], v[4:7], off
	;; [unrolled: 16-line block ×3, first 2 shown]
	s_waitcnt lgkmcnt(0)
	v_mul_f64 v[4:5], v[58:59], v[2:3]
	v_add_co_u32_e32 v8, vcc, s5, v8
	v_fma_f64 v[4:5], v[56:57], v[0:1], v[4:5]
	v_mul_f64 v[0:1], v[58:59], v[0:1]
	v_mul_f64 v[4:5], v[4:5], s[2:3]
	v_fma_f64 v[0:1], v[56:57], v[2:3], -v[0:1]
	v_mul_f64 v[6:7], v[0:1], s[2:3]
	v_mov_b32_e32 v0, s4
	v_addc_co_u32_e32 v9, vcc, v9, v0, vcc
	ds_read_b128 v[0:3], v16 offset:432
	global_store_dwordx4 v[8:9], v[4:7], off
	buffer_load_dword v10, off, s[24:27], 0 offset:88 ; 4-byte Folded Reload
	buffer_load_dword v11, off, s[24:27], 0 offset:92 ; 4-byte Folded Reload
	;; [unrolled: 1-line block ×4, first 2 shown]
	s_waitcnt vmcnt(0) lgkmcnt(0)
	v_mul_f64 v[4:5], v[12:13], v[2:3]
	v_fma_f64 v[4:5], v[10:11], v[0:1], v[4:5]
	v_mul_f64 v[0:1], v[12:13], v[0:1]
	v_mul_f64 v[4:5], v[4:5], s[2:3]
	v_fma_f64 v[0:1], v[10:11], v[2:3], -v[0:1]
	v_mov_b32_e32 v10, 0xffffed70
	v_mad_u64_u32 v[8:9], s[6:7], s0, v10, v[8:9]
	v_add_u32_e32 v9, s1, v9
	v_mul_f64 v[6:7], v[0:1], s[2:3]
	ds_read_b128 v[0:3], v16 offset:1728
	global_store_dwordx4 v[8:9], v[4:7], off
	buffer_load_dword v11, off, s[24:27], 0 offset:104 ; 4-byte Folded Reload
	buffer_load_dword v12, off, s[24:27], 0 offset:108 ; 4-byte Folded Reload
	buffer_load_dword v13, off, s[24:27], 0 offset:112 ; 4-byte Folded Reload
	buffer_load_dword v14, off, s[24:27], 0 offset:116 ; 4-byte Folded Reload
	v_add_co_u32_e32 v8, vcc, s5, v8
	s_waitcnt vmcnt(0) lgkmcnt(0)
	v_mul_f64 v[4:5], v[13:14], v[2:3]
	v_fma_f64 v[4:5], v[11:12], v[0:1], v[4:5]
	v_mul_f64 v[0:1], v[13:14], v[0:1]
	v_mul_f64 v[4:5], v[4:5], s[2:3]
	v_fma_f64 v[0:1], v[11:12], v[2:3], -v[0:1]
	v_mul_f64 v[6:7], v[0:1], s[2:3]
	v_mov_b32_e32 v0, s4
	v_addc_co_u32_e32 v9, vcc, v9, v0, vcc
	ds_read_b128 v[0:3], v16 offset:3024
	global_store_dwordx4 v[8:9], v[4:7], off
	buffer_load_dword v11, off, s[24:27], 0 offset:120 ; 4-byte Folded Reload
	buffer_load_dword v12, off, s[24:27], 0 offset:124 ; 4-byte Folded Reload
	buffer_load_dword v13, off, s[24:27], 0 offset:128 ; 4-byte Folded Reload
	buffer_load_dword v14, off, s[24:27], 0 offset:132 ; 4-byte Folded Reload
	v_add_co_u32_e32 v8, vcc, s5, v8
	s_waitcnt vmcnt(0) lgkmcnt(0)
	v_mul_f64 v[4:5], v[13:14], v[2:3]
	v_fma_f64 v[4:5], v[11:12], v[0:1], v[4:5]
	v_mul_f64 v[0:1], v[13:14], v[0:1]
	v_mul_f64 v[4:5], v[4:5], s[2:3]
	v_fma_f64 v[0:1], v[11:12], v[2:3], -v[0:1]
	v_mul_f64 v[6:7], v[0:1], s[2:3]
	v_mov_b32_e32 v0, s4
	v_addc_co_u32_e32 v9, vcc, v9, v0, vcc
	;; [unrolled: 16-line block ×4, first 2 shown]
	ds_read_b128 v[0:3], v16 offset:864
	global_store_dwordx4 v[8:9], v[4:7], off
	buffer_load_dword v11, off, s[24:27], 0 offset:56 ; 4-byte Folded Reload
	buffer_load_dword v12, off, s[24:27], 0 offset:60 ; 4-byte Folded Reload
	;; [unrolled: 1-line block ×4, first 2 shown]
	v_mad_u64_u32 v[8:9], s[6:7], s0, v10, v[8:9]
	v_add_u32_e32 v9, s1, v9
	s_waitcnt vmcnt(0) lgkmcnt(0)
	v_mul_f64 v[4:5], v[13:14], v[2:3]
	v_fma_f64 v[4:5], v[11:12], v[0:1], v[4:5]
	v_mul_f64 v[0:1], v[13:14], v[0:1]
	v_mul_f64 v[4:5], v[4:5], s[2:3]
	v_fma_f64 v[0:1], v[11:12], v[2:3], -v[0:1]
	v_mul_f64 v[6:7], v[0:1], s[2:3]
	ds_read_b128 v[0:3], v16 offset:2160
	global_store_dwordx4 v[8:9], v[4:7], off
	buffer_load_dword v10, off, s[24:27], 0 offset:72 ; 4-byte Folded Reload
	buffer_load_dword v11, off, s[24:27], 0 offset:76 ; 4-byte Folded Reload
	;; [unrolled: 1-line block ×4, first 2 shown]
	v_add_co_u32_e32 v8, vcc, s5, v8
	s_waitcnt vmcnt(0) lgkmcnt(0)
	v_mul_f64 v[4:5], v[12:13], v[2:3]
	v_fma_f64 v[4:5], v[10:11], v[0:1], v[4:5]
	v_mul_f64 v[0:1], v[12:13], v[0:1]
	v_mul_f64 v[4:5], v[4:5], s[2:3]
	v_fma_f64 v[0:1], v[10:11], v[2:3], -v[0:1]
	v_mul_f64 v[6:7], v[0:1], s[2:3]
	v_mov_b32_e32 v0, s4
	v_addc_co_u32_e32 v9, vcc, v9, v0, vcc
	ds_read_b128 v[0:3], v16 offset:3456
	global_store_dwordx4 v[8:9], v[4:7], off
	buffer_load_dword v10, off, s[24:27], 0 offset:16 ; 4-byte Folded Reload
	buffer_load_dword v11, off, s[24:27], 0 offset:20 ; 4-byte Folded Reload
	;; [unrolled: 1-line block ×4, first 2 shown]
	v_add_co_u32_e32 v8, vcc, s5, v8
	s_waitcnt vmcnt(0) lgkmcnt(0)
	v_mul_f64 v[4:5], v[12:13], v[2:3]
	v_fma_f64 v[4:5], v[10:11], v[0:1], v[4:5]
	v_mul_f64 v[0:1], v[12:13], v[0:1]
	v_mul_f64 v[4:5], v[4:5], s[2:3]
	v_fma_f64 v[0:1], v[10:11], v[2:3], -v[0:1]
	v_mul_f64 v[6:7], v[0:1], s[2:3]
	v_mov_b32_e32 v0, s4
	v_addc_co_u32_e32 v9, vcc, v9, v0, vcc
	ds_read_b128 v[0:3], v16 offset:4752
	global_store_dwordx4 v[8:9], v[4:7], off
	buffer_load_dword v10, off, s[24:27], 0 ; 4-byte Folded Reload
	buffer_load_dword v11, off, s[24:27], 0 offset:4 ; 4-byte Folded Reload
	buffer_load_dword v12, off, s[24:27], 0 offset:8 ; 4-byte Folded Reload
	;; [unrolled: 1-line block ×3, first 2 shown]
	v_add_co_u32_e32 v8, vcc, s5, v8
	s_waitcnt vmcnt(0) lgkmcnt(0)
	v_mul_f64 v[4:5], v[12:13], v[2:3]
	v_fma_f64 v[4:5], v[10:11], v[0:1], v[4:5]
	v_mul_f64 v[0:1], v[12:13], v[0:1]
	v_mul_f64 v[4:5], v[4:5], s[2:3]
	v_fma_f64 v[0:1], v[10:11], v[2:3], -v[0:1]
	v_mul_f64 v[6:7], v[0:1], s[2:3]
	v_mov_b32_e32 v0, s4
	v_addc_co_u32_e32 v9, vcc, v9, v0, vcc
	ds_read_b128 v[0:3], v16 offset:6048
	global_store_dwordx4 v[8:9], v[4:7], off
	buffer_load_dword v10, off, s[24:27], 0 offset:32 ; 4-byte Folded Reload
	buffer_load_dword v11, off, s[24:27], 0 offset:36 ; 4-byte Folded Reload
	;; [unrolled: 1-line block ×4, first 2 shown]
	s_waitcnt vmcnt(0) lgkmcnt(0)
	v_mul_f64 v[4:5], v[12:13], v[2:3]
	v_fma_f64 v[4:5], v[10:11], v[0:1], v[4:5]
	v_mul_f64 v[0:1], v[12:13], v[0:1]
	v_mul_f64 v[4:5], v[4:5], s[2:3]
	v_fma_f64 v[0:1], v[10:11], v[2:3], -v[0:1]
	v_mul_f64 v[6:7], v[0:1], s[2:3]
	v_add_co_u32_e32 v0, vcc, s5, v8
	v_mov_b32_e32 v1, s4
	v_addc_co_u32_e32 v1, vcc, v9, v1, vcc
	global_store_dwordx4 v[0:1], v[4:7], off
.LBB0_2:
	s_endpgm
	.section	.rodata,"a",@progbits
	.p2align	6, 0x0
	.amdhsa_kernel bluestein_single_fwd_len405_dim1_dp_op_CI_CI
		.amdhsa_group_segment_fixed_size 25920
		.amdhsa_private_segment_fixed_size 288
		.amdhsa_kernarg_size 104
		.amdhsa_user_sgpr_count 6
		.amdhsa_user_sgpr_private_segment_buffer 1
		.amdhsa_user_sgpr_dispatch_ptr 0
		.amdhsa_user_sgpr_queue_ptr 0
		.amdhsa_user_sgpr_kernarg_segment_ptr 1
		.amdhsa_user_sgpr_dispatch_id 0
		.amdhsa_user_sgpr_flat_scratch_init 0
		.amdhsa_user_sgpr_private_segment_size 0
		.amdhsa_uses_dynamic_stack 0
		.amdhsa_system_sgpr_private_segment_wavefront_offset 1
		.amdhsa_system_sgpr_workgroup_id_x 1
		.amdhsa_system_sgpr_workgroup_id_y 0
		.amdhsa_system_sgpr_workgroup_id_z 0
		.amdhsa_system_sgpr_workgroup_info 0
		.amdhsa_system_vgpr_workitem_id 0
		.amdhsa_next_free_vgpr 256
		.amdhsa_next_free_sgpr 28
		.amdhsa_reserve_vcc 1
		.amdhsa_reserve_flat_scratch 0
		.amdhsa_float_round_mode_32 0
		.amdhsa_float_round_mode_16_64 0
		.amdhsa_float_denorm_mode_32 3
		.amdhsa_float_denorm_mode_16_64 3
		.amdhsa_dx10_clamp 1
		.amdhsa_ieee_mode 1
		.amdhsa_fp16_overflow 0
		.amdhsa_exception_fp_ieee_invalid_op 0
		.amdhsa_exception_fp_denorm_src 0
		.amdhsa_exception_fp_ieee_div_zero 0
		.amdhsa_exception_fp_ieee_overflow 0
		.amdhsa_exception_fp_ieee_underflow 0
		.amdhsa_exception_fp_ieee_inexact 0
		.amdhsa_exception_int_div_zero 0
	.end_amdhsa_kernel
	.text
.Lfunc_end0:
	.size	bluestein_single_fwd_len405_dim1_dp_op_CI_CI, .Lfunc_end0-bluestein_single_fwd_len405_dim1_dp_op_CI_CI
                                        ; -- End function
	.section	.AMDGPU.csdata,"",@progbits
; Kernel info:
; codeLenInByte = 18640
; NumSgprs: 32
; NumVgprs: 256
; ScratchSize: 288
; MemoryBound: 0
; FloatMode: 240
; IeeeMode: 1
; LDSByteSize: 25920 bytes/workgroup (compile time only)
; SGPRBlocks: 3
; VGPRBlocks: 63
; NumSGPRsForWavesPerEU: 32
; NumVGPRsForWavesPerEU: 256
; Occupancy: 1
; WaveLimiterHint : 1
; COMPUTE_PGM_RSRC2:SCRATCH_EN: 1
; COMPUTE_PGM_RSRC2:USER_SGPR: 6
; COMPUTE_PGM_RSRC2:TRAP_HANDLER: 0
; COMPUTE_PGM_RSRC2:TGID_X_EN: 1
; COMPUTE_PGM_RSRC2:TGID_Y_EN: 0
; COMPUTE_PGM_RSRC2:TGID_Z_EN: 0
; COMPUTE_PGM_RSRC2:TIDIG_COMP_CNT: 0
	.type	__hip_cuid_2e8acb2485529137,@object ; @__hip_cuid_2e8acb2485529137
	.section	.bss,"aw",@nobits
	.globl	__hip_cuid_2e8acb2485529137
__hip_cuid_2e8acb2485529137:
	.byte	0                               ; 0x0
	.size	__hip_cuid_2e8acb2485529137, 1

	.ident	"AMD clang version 19.0.0git (https://github.com/RadeonOpenCompute/llvm-project roc-6.4.0 25133 c7fe45cf4b819c5991fe208aaa96edf142730f1d)"
	.section	".note.GNU-stack","",@progbits
	.addrsig
	.addrsig_sym __hip_cuid_2e8acb2485529137
	.amdgpu_metadata
---
amdhsa.kernels:
  - .args:
      - .actual_access:  read_only
        .address_space:  global
        .offset:         0
        .size:           8
        .value_kind:     global_buffer
      - .actual_access:  read_only
        .address_space:  global
        .offset:         8
        .size:           8
        .value_kind:     global_buffer
      - .actual_access:  read_only
        .address_space:  global
        .offset:         16
        .size:           8
        .value_kind:     global_buffer
      - .actual_access:  read_only
        .address_space:  global
        .offset:         24
        .size:           8
        .value_kind:     global_buffer
      - .actual_access:  read_only
        .address_space:  global
        .offset:         32
        .size:           8
        .value_kind:     global_buffer
      - .offset:         40
        .size:           8
        .value_kind:     by_value
      - .address_space:  global
        .offset:         48
        .size:           8
        .value_kind:     global_buffer
      - .address_space:  global
        .offset:         56
        .size:           8
        .value_kind:     global_buffer
      - .address_space:  global
        .offset:         64
        .size:           8
        .value_kind:     global_buffer
      - .address_space:  global
        .offset:         72
        .size:           8
        .value_kind:     global_buffer
      - .offset:         80
        .size:           4
        .value_kind:     by_value
      - .address_space:  global
        .offset:         88
        .size:           8
        .value_kind:     global_buffer
      - .address_space:  global
        .offset:         96
        .size:           8
        .value_kind:     global_buffer
    .group_segment_fixed_size: 25920
    .kernarg_segment_align: 8
    .kernarg_segment_size: 104
    .language:       OpenCL C
    .language_version:
      - 2
      - 0
    .max_flat_workgroup_size: 108
    .name:           bluestein_single_fwd_len405_dim1_dp_op_CI_CI
    .private_segment_fixed_size: 288
    .sgpr_count:     32
    .sgpr_spill_count: 0
    .symbol:         bluestein_single_fwd_len405_dim1_dp_op_CI_CI.kd
    .uniform_work_group_size: 1
    .uses_dynamic_stack: false
    .vgpr_count:     256
    .vgpr_spill_count: 71
    .wavefront_size: 64
amdhsa.target:   amdgcn-amd-amdhsa--gfx906
amdhsa.version:
  - 1
  - 2
...

	.end_amdgpu_metadata
